;; amdgpu-corpus repo=ROCm/rocFFT kind=compiled arch=gfx1030 opt=O3
	.text
	.amdgcn_target "amdgcn-amd-amdhsa--gfx1030"
	.amdhsa_code_object_version 6
	.protected	fft_rtc_fwd_len3000_factors_10_3_10_10_wgs_100_tpt_100_halfLds_sp_op_CI_CI_sbrr_dirReg ; -- Begin function fft_rtc_fwd_len3000_factors_10_3_10_10_wgs_100_tpt_100_halfLds_sp_op_CI_CI_sbrr_dirReg
	.globl	fft_rtc_fwd_len3000_factors_10_3_10_10_wgs_100_tpt_100_halfLds_sp_op_CI_CI_sbrr_dirReg
	.p2align	8
	.type	fft_rtc_fwd_len3000_factors_10_3_10_10_wgs_100_tpt_100_halfLds_sp_op_CI_CI_sbrr_dirReg,@function
fft_rtc_fwd_len3000_factors_10_3_10_10_wgs_100_tpt_100_halfLds_sp_op_CI_CI_sbrr_dirReg: ; @fft_rtc_fwd_len3000_factors_10_3_10_10_wgs_100_tpt_100_halfLds_sp_op_CI_CI_sbrr_dirReg
; %bb.0:
	s_clause 0x2
	s_load_dwordx4 s[16:19], s[4:5], 0x18
	s_load_dwordx4 s[12:15], s[4:5], 0x0
	;; [unrolled: 1-line block ×3, first 2 shown]
	v_mul_u32_u24_e32 v2, 0x290, v0
	v_mov_b32_e32 v1, 0
	v_mov_b32_e32 v62, 0
	;; [unrolled: 1-line block ×3, first 2 shown]
	s_waitcnt lgkmcnt(0)
	s_load_dwordx2 s[20:21], s[16:17], 0x0
	s_load_dwordx2 s[2:3], s[18:19], 0x0
	v_cmp_lt_u64_e64 s0, s[14:15], 2
	v_add_nc_u32_sdwa v3, s6, v2 dst_sel:DWORD dst_unused:UNUSED_PAD src0_sel:DWORD src1_sel:WORD_1
	v_mov_b32_e32 v4, v1
	s_and_b32 vcc_lo, exec_lo, s0
	s_cbranch_vccnz .LBB0_8
; %bb.1:
	s_load_dwordx2 s[0:1], s[4:5], 0x10
	v_mov_b32_e32 v62, 0
	v_mov_b32_e32 v63, 0
	s_add_u32 s6, s18, 8
	s_addc_u32 s7, s19, 0
	v_mov_b32_e32 v40, v62
	s_add_u32 s22, s16, 8
	v_mov_b32_e32 v41, v63
	s_addc_u32 s23, s17, 0
	s_mov_b64 s[26:27], 1
	s_waitcnt lgkmcnt(0)
	s_add_u32 s24, s0, 8
	s_addc_u32 s25, s1, 0
.LBB0_2:                                ; =>This Inner Loop Header: Depth=1
	s_load_dwordx2 s[28:29], s[24:25], 0x0
                                        ; implicit-def: $vgpr42_vgpr43
	s_mov_b32 s0, exec_lo
	s_waitcnt lgkmcnt(0)
	v_or_b32_e32 v2, s29, v4
	v_cmpx_ne_u64_e32 0, v[1:2]
	s_xor_b32 s1, exec_lo, s0
	s_cbranch_execz .LBB0_4
; %bb.3:                                ;   in Loop: Header=BB0_2 Depth=1
	v_cvt_f32_u32_e32 v2, s28
	v_cvt_f32_u32_e32 v5, s29
	s_sub_u32 s0, 0, s28
	s_subb_u32 s30, 0, s29
	v_fmac_f32_e32 v2, 0x4f800000, v5
	v_rcp_f32_e32 v2, v2
	v_mul_f32_e32 v2, 0x5f7ffffc, v2
	v_mul_f32_e32 v5, 0x2f800000, v2
	v_trunc_f32_e32 v5, v5
	v_fmac_f32_e32 v2, 0xcf800000, v5
	v_cvt_u32_f32_e32 v5, v5
	v_cvt_u32_f32_e32 v2, v2
	v_mul_lo_u32 v6, s0, v5
	v_mul_hi_u32 v7, s0, v2
	v_mul_lo_u32 v8, s30, v2
	v_add_nc_u32_e32 v6, v7, v6
	v_mul_lo_u32 v7, s0, v2
	v_add_nc_u32_e32 v6, v6, v8
	v_mul_hi_u32 v8, v2, v7
	v_mul_lo_u32 v9, v2, v6
	v_mul_hi_u32 v10, v2, v6
	v_mul_hi_u32 v11, v5, v7
	v_mul_lo_u32 v7, v5, v7
	v_mul_hi_u32 v12, v5, v6
	v_mul_lo_u32 v6, v5, v6
	v_add_co_u32 v8, vcc_lo, v8, v9
	v_add_co_ci_u32_e32 v9, vcc_lo, 0, v10, vcc_lo
	v_add_co_u32 v7, vcc_lo, v8, v7
	v_add_co_ci_u32_e32 v7, vcc_lo, v9, v11, vcc_lo
	v_add_co_ci_u32_e32 v8, vcc_lo, 0, v12, vcc_lo
	v_add_co_u32 v6, vcc_lo, v7, v6
	v_add_co_ci_u32_e32 v7, vcc_lo, 0, v8, vcc_lo
	v_add_co_u32 v2, vcc_lo, v2, v6
	v_add_co_ci_u32_e32 v5, vcc_lo, v5, v7, vcc_lo
	v_mul_hi_u32 v6, s0, v2
	v_mul_lo_u32 v8, s30, v2
	v_mul_lo_u32 v7, s0, v5
	v_add_nc_u32_e32 v6, v6, v7
	v_mul_lo_u32 v7, s0, v2
	v_add_nc_u32_e32 v6, v6, v8
	v_mul_hi_u32 v8, v2, v7
	v_mul_lo_u32 v9, v2, v6
	v_mul_hi_u32 v10, v2, v6
	v_mul_hi_u32 v11, v5, v7
	v_mul_lo_u32 v7, v5, v7
	v_mul_hi_u32 v12, v5, v6
	v_mul_lo_u32 v6, v5, v6
	v_add_co_u32 v8, vcc_lo, v8, v9
	v_add_co_ci_u32_e32 v9, vcc_lo, 0, v10, vcc_lo
	v_add_co_u32 v7, vcc_lo, v8, v7
	v_add_co_ci_u32_e32 v7, vcc_lo, v9, v11, vcc_lo
	v_add_co_ci_u32_e32 v8, vcc_lo, 0, v12, vcc_lo
	v_add_co_u32 v6, vcc_lo, v7, v6
	v_add_co_ci_u32_e32 v7, vcc_lo, 0, v8, vcc_lo
	v_add_co_u32 v2, vcc_lo, v2, v6
	v_add_co_ci_u32_e32 v9, vcc_lo, v5, v7, vcc_lo
	v_mul_hi_u32 v11, v3, v2
	v_mad_u64_u32 v[7:8], null, v4, v2, 0
	v_mad_u64_u32 v[5:6], null, v3, v9, 0
	v_mad_u64_u32 v[9:10], null, v4, v9, 0
	v_add_co_u32 v2, vcc_lo, v11, v5
	v_add_co_ci_u32_e32 v5, vcc_lo, 0, v6, vcc_lo
	v_add_co_u32 v2, vcc_lo, v2, v7
	v_add_co_ci_u32_e32 v2, vcc_lo, v5, v8, vcc_lo
	v_add_co_ci_u32_e32 v5, vcc_lo, 0, v10, vcc_lo
	v_add_co_u32 v2, vcc_lo, v2, v9
	v_add_co_ci_u32_e32 v7, vcc_lo, 0, v5, vcc_lo
	v_mul_lo_u32 v8, s29, v2
	v_mad_u64_u32 v[5:6], null, s28, v2, 0
	v_mul_lo_u32 v9, s28, v7
	v_sub_co_u32 v5, vcc_lo, v3, v5
	v_add3_u32 v6, v6, v9, v8
	v_sub_nc_u32_e32 v8, v4, v6
	v_subrev_co_ci_u32_e64 v8, s0, s29, v8, vcc_lo
	v_add_co_u32 v9, s0, v2, 2
	v_add_co_ci_u32_e64 v10, s0, 0, v7, s0
	v_sub_co_u32 v11, s0, v5, s28
	v_sub_co_ci_u32_e32 v6, vcc_lo, v4, v6, vcc_lo
	v_subrev_co_ci_u32_e64 v8, s0, 0, v8, s0
	v_cmp_le_u32_e32 vcc_lo, s28, v11
	v_cmp_eq_u32_e64 s0, s29, v6
	v_cndmask_b32_e64 v11, 0, -1, vcc_lo
	v_cmp_le_u32_e32 vcc_lo, s29, v8
	v_cndmask_b32_e64 v12, 0, -1, vcc_lo
	v_cmp_le_u32_e32 vcc_lo, s28, v5
	;; [unrolled: 2-line block ×3, first 2 shown]
	v_cndmask_b32_e64 v13, 0, -1, vcc_lo
	v_cmp_eq_u32_e32 vcc_lo, s29, v8
	v_cndmask_b32_e64 v5, v13, v5, s0
	v_cndmask_b32_e32 v8, v12, v11, vcc_lo
	v_add_co_u32 v11, vcc_lo, v2, 1
	v_add_co_ci_u32_e32 v12, vcc_lo, 0, v7, vcc_lo
	v_cmp_ne_u32_e32 vcc_lo, 0, v8
	v_cndmask_b32_e32 v6, v12, v10, vcc_lo
	v_cndmask_b32_e32 v8, v11, v9, vcc_lo
	v_cmp_ne_u32_e32 vcc_lo, 0, v5
	v_cndmask_b32_e32 v43, v7, v6, vcc_lo
	v_cndmask_b32_e32 v42, v2, v8, vcc_lo
.LBB0_4:                                ;   in Loop: Header=BB0_2 Depth=1
	s_andn2_saveexec_b32 s0, s1
	s_cbranch_execz .LBB0_6
; %bb.5:                                ;   in Loop: Header=BB0_2 Depth=1
	v_cvt_f32_u32_e32 v2, s28
	s_sub_i32 s1, 0, s28
	v_mov_b32_e32 v43, v1
	v_rcp_iflag_f32_e32 v2, v2
	v_mul_f32_e32 v2, 0x4f7ffffe, v2
	v_cvt_u32_f32_e32 v2, v2
	v_mul_lo_u32 v5, s1, v2
	v_mul_hi_u32 v5, v2, v5
	v_add_nc_u32_e32 v2, v2, v5
	v_mul_hi_u32 v2, v3, v2
	v_mul_lo_u32 v5, v2, s28
	v_add_nc_u32_e32 v6, 1, v2
	v_sub_nc_u32_e32 v5, v3, v5
	v_subrev_nc_u32_e32 v7, s28, v5
	v_cmp_le_u32_e32 vcc_lo, s28, v5
	v_cndmask_b32_e32 v5, v5, v7, vcc_lo
	v_cndmask_b32_e32 v2, v2, v6, vcc_lo
	v_cmp_le_u32_e32 vcc_lo, s28, v5
	v_add_nc_u32_e32 v6, 1, v2
	v_cndmask_b32_e32 v42, v2, v6, vcc_lo
.LBB0_6:                                ;   in Loop: Header=BB0_2 Depth=1
	s_or_b32 exec_lo, exec_lo, s0
	v_mul_lo_u32 v2, v43, s28
	v_mul_lo_u32 v7, v42, s29
	s_load_dwordx2 s[0:1], s[22:23], 0x0
	v_mad_u64_u32 v[5:6], null, v42, s28, 0
	s_load_dwordx2 s[28:29], s[6:7], 0x0
	s_add_u32 s26, s26, 1
	s_addc_u32 s27, s27, 0
	s_add_u32 s6, s6, 8
	s_addc_u32 s7, s7, 0
	s_add_u32 s22, s22, 8
	v_add3_u32 v2, v6, v7, v2
	v_sub_co_u32 v3, vcc_lo, v3, v5
	s_addc_u32 s23, s23, 0
	s_add_u32 s24, s24, 8
	v_sub_co_ci_u32_e32 v2, vcc_lo, v4, v2, vcc_lo
	s_addc_u32 s25, s25, 0
	s_waitcnt lgkmcnt(0)
	v_mul_lo_u32 v4, s0, v2
	v_mul_lo_u32 v5, s1, v3
	v_mad_u64_u32 v[62:63], null, s0, v3, v[62:63]
	v_mul_lo_u32 v2, s28, v2
	v_mul_lo_u32 v6, s29, v3
	v_mad_u64_u32 v[40:41], null, s28, v3, v[40:41]
	v_cmp_ge_u64_e64 s0, s[26:27], s[14:15]
	v_add3_u32 v63, v5, v63, v4
	v_add3_u32 v41, v6, v41, v2
	s_and_b32 vcc_lo, exec_lo, s0
	s_cbranch_vccnz .LBB0_9
; %bb.7:                                ;   in Loop: Header=BB0_2 Depth=1
	v_mov_b32_e32 v3, v42
	v_mov_b32_e32 v4, v43
	s_branch .LBB0_2
.LBB0_8:
	v_mov_b32_e32 v40, v62
	v_mov_b32_e32 v43, v4
	;; [unrolled: 1-line block ×4, first 2 shown]
.LBB0_9:
	s_load_dwordx2 s[0:1], s[4:5], 0x28
	v_mul_hi_u32 v2, 0x28f5c29, v0
	s_lshl_b64 s[6:7], s[14:15], 3
                                        ; implicit-def: $vgpr75
                                        ; implicit-def: $vgpr76
                                        ; implicit-def: $vgpr77
                                        ; implicit-def: $vgpr67
                                        ; implicit-def: $vgpr69
                                        ; implicit-def: $vgpr71
                                        ; implicit-def: $vgpr66
                                        ; implicit-def: $vgpr68
                                        ; implicit-def: $vgpr70
                                        ; implicit-def: $vgpr65
	s_add_u32 s4, s18, s6
	s_addc_u32 s5, s19, s7
	s_waitcnt lgkmcnt(0)
	v_cmp_gt_u64_e32 vcc_lo, s[0:1], v[42:43]
	v_cmp_le_u64_e64 s0, s[0:1], v[42:43]
	s_and_saveexec_b32 s1, s0
	s_xor_b32 s0, exec_lo, s1
; %bb.10:
	v_mul_u32_u24_e32 v1, 0x64, v2
                                        ; implicit-def: $vgpr2
                                        ; implicit-def: $vgpr62_vgpr63
	v_sub_nc_u32_e32 v75, v0, v1
                                        ; implicit-def: $vgpr0
	v_add_nc_u32_e32 v76, 0x64, v75
	v_add_nc_u32_e32 v77, 0xc8, v75
	;; [unrolled: 1-line block ×9, first 2 shown]
; %bb.11:
	s_or_saveexec_b32 s1, s0
                                        ; implicit-def: $vgpr7
                                        ; implicit-def: $vgpr5
                                        ; implicit-def: $vgpr15
                                        ; implicit-def: $vgpr9
                                        ; implicit-def: $vgpr19
                                        ; implicit-def: $vgpr13
                                        ; implicit-def: $vgpr59
                                        ; implicit-def: $vgpr11
                                        ; implicit-def: $vgpr3
                                        ; implicit-def: $vgpr1
                                        ; implicit-def: $vgpr23
                                        ; implicit-def: $vgpr25
                                        ; implicit-def: $vgpr33
                                        ; implicit-def: $vgpr27
                                        ; implicit-def: $vgpr37
                                        ; implicit-def: $vgpr31
                                        ; implicit-def: $vgpr61
                                        ; implicit-def: $vgpr29
                                        ; implicit-def: $vgpr21
                                        ; implicit-def: $vgpr17
                                        ; implicit-def: $vgpr45
                                        ; implicit-def: $vgpr47
                                        ; implicit-def: $vgpr55
                                        ; implicit-def: $vgpr49
                                        ; implicit-def: $vgpr57
                                        ; implicit-def: $vgpr53
                                        ; implicit-def: $vgpr64
                                        ; implicit-def: $vgpr51
                                        ; implicit-def: $vgpr39
                                        ; implicit-def: $vgpr35
	s_xor_b32 exec_lo, exec_lo, s1
	s_cbranch_execz .LBB0_13
; %bb.12:
	s_add_u32 s6, s16, s6
	s_addc_u32 s7, s17, s7
	v_mul_u32_u24_e32 v1, 0x64, v2
	s_load_dwordx2 s[6:7], s[6:7], 0x0
	v_lshlrev_b64 v[2:3], 3, v[62:63]
	v_sub_nc_u32_e32 v75, v0, v1
	v_add_nc_u32_e32 v67, 0x12c, v75
	v_mad_u64_u32 v[0:1], null, s20, v75, 0
	v_add_nc_u32_e32 v66, 0x258, v75
	v_add_nc_u32_e32 v65, 0x384, v75
	v_mad_u64_u32 v[4:5], null, s20, v67, 0
	v_add_nc_u32_e32 v18, 0x4b0, v75
	v_mad_u64_u32 v[6:7], null, s20, v66, 0
	v_mad_u64_u32 v[10:11], null, s21, v75, v[1:2]
	s_waitcnt lgkmcnt(0)
	v_mul_lo_u32 v13, s7, v42
	v_mul_lo_u32 v14, s6, v43
	v_mad_u64_u32 v[8:9], null, s6, v42, 0
	v_mov_b32_e32 v1, v5
	v_mad_u64_u32 v[11:12], null, s20, v65, 0
	v_mov_b32_e32 v5, v7
	v_add_nc_u32_e32 v20, 0x708, v75
	v_add_nc_u32_e32 v22, 0x834, v75
	v_add3_u32 v9, v9, v14, v13
	v_mad_u64_u32 v[13:14], null, s21, v67, v[1:2]
	v_mov_b32_e32 v1, v10
	v_mad_u64_u32 v[14:15], null, s20, v18, 0
	v_lshlrev_b64 v[7:8], 3, v[8:9]
	v_mad_u64_u32 v[9:10], null, s21, v66, v[5:6]
	v_mov_b32_e32 v10, v12
	v_mov_b32_e32 v5, v13
	v_lshlrev_b64 v[0:1], 3, v[0:1]
	v_add_co_u32 v12, s0, s8, v7
	v_add_co_ci_u32_e64 v13, s0, s9, v8, s0
	v_mov_b32_e32 v7, v9
	v_add_co_u32 v8, s0, v12, v2
	v_add_co_ci_u32_e64 v9, s0, v13, v3, s0
	v_lshlrev_b64 v[2:3], 3, v[4:5]
	v_mad_u64_u32 v[4:5], null, s21, v65, v[10:11]
	v_add_nc_u32_e32 v13, 0x5dc, v75
	v_add_co_u32 v0, s0, v8, v0
	v_lshlrev_b64 v[5:6], 3, v[6:7]
	v_add_co_ci_u32_e64 v1, s0, v9, v1, s0
	v_add_co_u32 v2, s0, v8, v2
	v_mov_b32_e32 v7, v15
	v_mov_b32_e32 v12, v4
	v_mad_u64_u32 v[16:17], null, s20, v13, 0
	v_add_co_ci_u32_e64 v3, s0, v9, v3, s0
	v_add_co_u32 v4, s0, v8, v5
	v_mad_u64_u32 v[18:19], null, s21, v18, v[7:8]
	v_add_co_ci_u32_e64 v5, s0, v9, v6, s0
	v_lshlrev_b64 v[6:7], 3, v[11:12]
	v_mad_u64_u32 v[11:12], null, s20, v20, 0
	v_mov_b32_e32 v10, v17
	v_mov_b32_e32 v15, v18
	v_add_nc_u32_e32 v24, 0x960, v75
	v_add_co_u32 v6, s0, v8, v6
	v_add_co_ci_u32_e64 v7, s0, v9, v7, s0
	v_mad_u64_u32 v[17:18], null, s21, v13, v[10:11]
	v_mov_b32_e32 v10, v12
	v_mad_u64_u32 v[18:19], null, s20, v22, 0
	v_lshlrev_b64 v[13:14], 3, v[14:15]
	v_add_nc_u32_e32 v26, 0xa8c, v75
	v_mad_u64_u32 v[20:21], null, s21, v20, v[10:11]
	v_add_nc_u32_e32 v76, 0x64, v75
	v_add_nc_u32_e32 v69, 0x190, v75
	v_mov_b32_e32 v10, v19
	v_add_co_u32 v13, s0, v8, v13
	v_add_nc_u32_e32 v68, 0x2bc, v75
	v_mov_b32_e32 v12, v20
	v_mad_u64_u32 v[20:21], null, s20, v24, 0
	v_mad_u64_u32 v[22:23], null, s21, v22, v[10:11]
	v_lshlrev_b64 v[10:11], 3, v[11:12]
	v_add_nc_u32_e32 v34, 0x3e8, v75
	v_lshlrev_b64 v[15:16], 3, v[16:17]
	v_add_nc_u32_e32 v36, 0x514, v75
	v_mov_b32_e32 v12, v21
	v_add_co_ci_u32_e64 v14, s0, v9, v14, s0
	v_mov_b32_e32 v19, v22
	v_mad_u64_u32 v[22:23], null, s20, v26, 0
	v_mad_u64_u32 v[24:25], null, s21, v24, v[12:13]
	v_add_co_u32 v15, s0, v8, v15
	v_lshlrev_b64 v[17:18], 3, v[18:19]
	v_add_co_ci_u32_e64 v16, s0, v9, v16, s0
	v_mov_b32_e32 v12, v23
	v_mov_b32_e32 v21, v24
	v_mad_u64_u32 v[24:25], null, s20, v76, 0
	v_add_co_u32 v10, s0, v8, v10
	v_mad_u64_u32 v[26:27], null, s21, v26, v[12:13]
	v_lshlrev_b64 v[19:20], 3, v[20:21]
	v_add_co_ci_u32_e64 v11, s0, v9, v11, s0
	v_mov_b32_e32 v12, v25
	v_add_co_u32 v17, s0, v8, v17
	v_mov_b32_e32 v23, v26
	v_mad_u64_u32 v[26:27], null, s20, v69, 0
	v_mad_u64_u32 v[28:29], null, s21, v76, v[12:13]
	v_lshlrev_b64 v[21:22], 3, v[22:23]
	v_add_co_ci_u32_e64 v18, s0, v9, v18, s0
	v_add_nc_u32_e32 v38, 0x640, v75
	v_mov_b32_e32 v12, v27
	v_add_co_u32 v19, s0, v8, v19
	v_mov_b32_e32 v25, v28
	v_mad_u64_u32 v[28:29], null, s20, v68, 0
	v_mad_u64_u32 v[30:31], null, s21, v69, v[12:13]
	v_lshlrev_b64 v[23:24], 3, v[24:25]
	v_add_co_ci_u32_e64 v20, s0, v9, v20, s0
	v_add_co_u32 v21, s0, v8, v21
	v_mov_b32_e32 v12, v29
	v_mov_b32_e32 v27, v30
	v_mad_u64_u32 v[30:31], null, s20, v34, 0
	v_add_co_ci_u32_e64 v22, s0, v9, v22, s0
	v_mad_u64_u32 v[32:33], null, s21, v68, v[12:13]
	v_lshlrev_b64 v[25:26], 3, v[26:27]
	v_add_co_u32 v23, s0, v8, v23
	v_mov_b32_e32 v12, v31
	v_add_nc_u32_e32 v44, 0x76c, v75
	v_add_co_ci_u32_e64 v24, s0, v9, v24, s0
	v_mov_b32_e32 v29, v32
	v_mad_u64_u32 v[32:33], null, s20, v36, 0
	v_mad_u64_u32 v[34:35], null, s21, v34, v[12:13]
	v_lshlrev_b64 v[27:28], 3, v[28:29]
	v_add_co_u32 v25, s0, v8, v25
	v_add_co_ci_u32_e64 v26, s0, v9, v26, s0
	v_mov_b32_e32 v12, v33
	v_mov_b32_e32 v31, v34
	v_mad_u64_u32 v[34:35], null, s20, v38, 0
	v_add_co_u32 v27, s0, v8, v27
	v_mad_u64_u32 v[36:37], null, s21, v36, v[12:13]
	v_lshlrev_b64 v[29:30], 3, v[30:31]
	v_add_nc_u32_e32 v46, 0x898, v75
	v_mov_b32_e32 v12, v35
	v_add_co_ci_u32_e64 v28, s0, v9, v28, s0
	v_add_nc_u32_e32 v47, 0x9c4, v75
	v_mov_b32_e32 v33, v36
	v_mad_u64_u32 v[36:37], null, s20, v44, 0
	v_add_co_u32 v58, s0, v8, v29
	v_mad_u64_u32 v[38:39], null, s21, v38, v[12:13]
	v_add_co_ci_u32_e64 v59, s0, v9, v30, s0
	v_lshlrev_b64 v[29:30], 3, v[32:33]
	v_mad_u64_u32 v[31:32], null, s20, v46, 0
	v_mov_b32_e32 v12, v37
	v_mov_b32_e32 v35, v38
	v_mad_u64_u32 v[38:39], null, s20, v47, 0
	v_add_co_u32 v72, s0, v8, v29
	v_mad_u64_u32 v[44:45], null, s21, v44, v[12:13]
	v_mov_b32_e32 v12, v32
	v_add_co_ci_u32_e64 v73, s0, v9, v30, s0
	v_lshlrev_b64 v[29:30], 3, v[34:35]
	v_mov_b32_e32 v32, v39
	v_mad_u64_u32 v[33:34], null, s21, v46, v[12:13]
	v_mov_b32_e32 v37, v44
	v_add_nc_u32_e32 v44, 0xaf0, v75
	v_add_co_u32 v78, s0, v8, v29
	v_add_co_ci_u32_e64 v79, s0, v9, v30, s0
	v_mad_u64_u32 v[34:35], null, s21, v47, v[32:33]
	v_lshlrev_b64 v[29:30], 3, v[36:37]
	v_mad_u64_u32 v[35:36], null, s20, v44, 0
	v_add_nc_u32_e32 v77, 0xc8, v75
	v_mov_b32_e32 v32, v33
	v_add_nc_u32_e32 v71, 0x1f4, v75
	v_mov_b32_e32 v39, v34
	v_add_co_u32 v80, s0, v8, v29
	v_mad_u64_u32 v[33:34], null, s20, v77, 0
	v_mov_b32_e32 v12, v36
	v_add_co_ci_u32_e64 v81, s0, v9, v30, s0
	v_lshlrev_b64 v[29:30], 3, v[31:32]
	v_lshlrev_b64 v[31:32], 3, v[38:39]
	v_mad_u64_u32 v[37:38], null, s20, v71, 0
	v_mad_u64_u32 v[44:45], null, s21, v44, v[12:13]
	;; [unrolled: 1-line block ×3, first 2 shown]
	v_add_co_u32 v82, s0, v8, v29
	v_mov_b32_e32 v12, v38
	v_add_nc_u32_e32 v70, 0x320, v75
	v_mov_b32_e32 v36, v44
	v_add_nc_u32_e32 v39, 0x44c, v75
	v_mov_b32_e32 v34, v45
	v_add_co_ci_u32_e64 v83, s0, v9, v30, s0
	v_add_co_u32 v84, s0, v8, v31
	v_mad_u64_u32 v[29:30], null, s21, v71, v[12:13]
	v_add_co_ci_u32_e64 v85, s0, v9, v32, s0
	v_lshlrev_b64 v[30:31], 3, v[35:36]
	v_lshlrev_b64 v[32:33], 3, v[33:34]
	v_mad_u64_u32 v[34:35], null, s20, v70, 0
	v_mad_u64_u32 v[44:45], null, s20, v39, 0
	v_add_co_u32 v86, s0, v8, v30
	v_mov_b32_e32 v38, v29
	v_add_co_ci_u32_e64 v87, s0, v9, v31, s0
	v_mov_b32_e32 v12, v35
	v_mov_b32_e32 v31, v45
	v_add_nc_u32_e32 v46, 0x578, v75
	v_lshlrev_b64 v[29:30], 3, v[37:38]
	v_add_co_u32 v88, s0, v8, v32
	v_mad_u64_u32 v[35:36], null, s21, v70, v[12:13]
	v_mad_u64_u32 v[36:37], null, s21, v39, v[31:32]
	;; [unrolled: 1-line block ×3, first 2 shown]
	v_add_co_ci_u32_e64 v89, s0, v9, v33, s0
	v_add_co_u32 v90, s0, v8, v29
	v_mov_b32_e32 v45, v36
	v_add_nc_u32_e32 v36, 0x6a4, v75
	v_mov_b32_e32 v12, v38
	v_add_co_ci_u32_e64 v91, s0, v9, v30, s0
	v_lshlrev_b64 v[29:30], 3, v[34:35]
	v_add_nc_u32_e32 v39, 0x7d0, v75
	v_mad_u64_u32 v[31:32], null, s21, v46, v[12:13]
	v_mad_u64_u32 v[32:33], null, s20, v36, 0
	v_add_nc_u32_e32 v47, 0x8fc, v75
	v_mad_u64_u32 v[34:35], null, s20, v39, 0
	v_add_co_u32 v92, s0, v8, v29
	v_add_co_ci_u32_e64 v93, s0, v9, v30, s0
	v_mov_b32_e32 v12, v33
	v_lshlrev_b64 v[29:30], 3, v[44:45]
	v_mov_b32_e32 v38, v31
	v_mad_u64_u32 v[44:45], null, s21, v36, v[12:13]
	v_mad_u64_u32 v[45:46], null, s20, v47, 0
	v_mov_b32_e32 v12, v35
	v_add_co_u32 v94, s0, v8, v29
	v_add_co_ci_u32_e64 v95, s0, v9, v30, s0
	v_mad_u64_u32 v[35:36], null, s21, v39, v[12:13]
	v_mov_b32_e32 v31, v46
	v_add_nc_u32_e32 v39, 0xa28, v75
	v_mov_b32_e32 v33, v44
	v_add_nc_u32_e32 v44, 0xb54, v75
	v_lshlrev_b64 v[29:30], 3, v[37:38]
	v_mad_u64_u32 v[36:37], null, s21, v47, v[31:32]
	v_mad_u64_u32 v[37:38], null, s20, v39, 0
	;; [unrolled: 1-line block ×3, first 2 shown]
	v_add_co_u32 v96, s0, v8, v29
	v_add_co_ci_u32_e64 v97, s0, v9, v30, s0
	v_mov_b32_e32 v12, v38
	v_lshlrev_b64 v[29:30], 3, v[32:33]
	v_lshlrev_b64 v[32:33], 3, v[34:35]
	v_mov_b32_e32 v31, v48
	v_mov_b32_e32 v46, v36
	v_mad_u64_u32 v[34:35], null, s21, v39, v[12:13]
	v_add_co_u32 v98, s0, v8, v29
	v_mad_u64_u32 v[35:36], null, s21, v44, v[31:32]
	v_add_co_ci_u32_e64 v99, s0, v9, v30, s0
	v_lshlrev_b64 v[29:30], 3, v[45:46]
	v_mov_b32_e32 v38, v34
	v_add_co_u32 v100, s0, v8, v32
	v_mov_b32_e32 v48, v35
	v_add_co_ci_u32_e64 v101, s0, v9, v33, s0
	v_lshlrev_b64 v[31:32], 3, v[37:38]
	v_add_co_u32 v102, s0, v8, v29
	v_add_co_ci_u32_e64 v103, s0, v9, v30, s0
	v_lshlrev_b64 v[29:30], 3, v[47:48]
	v_add_co_u32 v104, s0, v8, v31
	v_add_co_ci_u32_e64 v105, s0, v9, v32, s0
	v_add_co_u32 v106, s0, v8, v29
	v_add_co_ci_u32_e64 v107, s0, v9, v30, s0
	s_clause 0x1d
	global_load_dwordx2 v[34:35], v[0:1], off
	global_load_dwordx2 v[38:39], v[2:3], off
	;; [unrolled: 1-line block ×30, first 2 shown]
.LBB0_13:
	s_or_b32 exec_lo, exec_lo, s1
	s_waitcnt vmcnt(23)
	v_add_f32_e32 v62, v48, v52
	s_waitcnt vmcnt(21)
	v_add_f32_e32 v72, v46, v50
	v_add_f32_e32 v74, v50, v34
	v_sub_f32_e32 v81, v53, v49
	v_sub_f32_e32 v73, v48, v46
	v_fma_f32 v79, -0.5, v62, v34
	v_fmac_f32_e32 v34, -0.5, v72
	v_sub_f32_e32 v62, v50, v52
	v_sub_f32_e32 v72, v52, v50
	;; [unrolled: 1-line block ×4, first 2 shown]
	v_fmamk_f32 v80, v81, 0xbf737871, v34
	v_fmac_f32_e32 v34, 0x3f737871, v81
	v_sub_f32_e32 v84, v63, v56
	v_add_f32_e32 v72, v73, v72
	v_add_f32_e32 v73, v54, v56
	v_fmac_f32_e32 v80, 0x3f167918, v82
	s_waitcnt vmcnt(20)
	v_add_f32_e32 v85, v44, v63
	v_add_f32_e32 v83, v78, v62
	v_fmac_f32_e32 v34, 0xbf167918, v82
	v_sub_f32_e32 v78, v44, v54
	v_fmac_f32_e32 v80, 0x3e9e377a, v72
	v_fma_f32 v62, -0.5, v73, v38
	v_add_f32_e32 v87, v63, v38
	v_fmac_f32_e32 v38, -0.5, v85
	v_sub_f32_e32 v85, v57, v55
	v_fmac_f32_e32 v34, 0x3e9e377a, v72
	v_add_f32_e32 v84, v78, v84
	v_sub_f32_e32 v72, v56, v63
	v_sub_f32_e32 v78, v54, v44
	v_add_f32_e32 v88, v55, v57
	v_add_f32_e32 v90, v45, v64
	v_fmamk_f32 v73, v85, 0xbf737871, v38
	v_sub_f32_e32 v86, v64, v45
	v_fmac_f32_e32 v38, 0x3f737871, v85
	v_add_f32_e32 v89, v78, v72
	v_fma_f32 v72, -0.5, v88, v39
	v_add_f32_e32 v78, v64, v39
	v_fmac_f32_e32 v39, -0.5, v90
	v_sub_f32_e32 v90, v56, v54
	v_sub_f32_e32 v91, v57, v64
	;; [unrolled: 1-line block ×5, first 2 shown]
	v_fmac_f32_e32 v73, 0x3f167918, v86
	v_fmac_f32_e32 v38, 0xbf167918, v86
	v_sub_f32_e32 v88, v63, v44
	v_fmamk_f32 v63, v90, 0x3f737871, v39
	v_fmac_f32_e32 v39, 0xbf737871, v90
	v_add_f32_e32 v91, v92, v91
	v_add_f32_e32 v92, v93, v64
	v_fmamk_f32 v64, v86, 0x3f737871, v62
	v_fmac_f32_e32 v73, 0x3e9e377a, v89
	v_fmac_f32_e32 v63, 0xbf167918, v88
	v_fmac_f32_e32 v39, 0x3f167918, v88
	v_fmac_f32_e32 v38, 0x3e9e377a, v89
	v_add_f32_e32 v89, v52, v74
	v_fmamk_f32 v74, v88, 0xbf737871, v72
	v_fmac_f32_e32 v64, 0x3f167918, v85
	v_fmac_f32_e32 v63, 0x3e9e377a, v91
	v_fmac_f32_e32 v39, 0x3e9e377a, v91
	v_fmamk_f32 v91, v82, 0x3f737871, v79
	v_add_f32_e32 v56, v56, v87
	v_add_f32_e32 v87, v48, v89
	v_fmac_f32_e32 v74, 0xbf167918, v90
	v_fmac_f32_e32 v64, 0x3e9e377a, v84
	v_fmac_f32_e32 v62, 0xbf737871, v86
	v_fmac_f32_e32 v91, 0x3f167918, v81
	v_add_f32_e32 v54, v54, v56
	v_add_f32_e32 v56, v46, v87
	v_fmac_f32_e32 v74, 0x3e9e377a, v92
	v_mul_f32_e32 v93, 0x3f4f1bbd, v64
	v_mul_f32_e32 v94, 0x3e9e377a, v73
	;; [unrolled: 1-line block ×3, first 2 shown]
	v_fmac_f32_e32 v72, 0x3f737871, v88
	v_fmac_f32_e32 v62, 0xbf167918, v85
	;; [unrolled: 1-line block ×3, first 2 shown]
	v_add_f32_e32 v44, v44, v54
	v_fmac_f32_e32 v93, 0x3f167918, v74
	v_fmac_f32_e32 v94, 0x3f737871, v63
	v_fma_f32 v54, 0x3f737871, v39, -v87
	v_mul_u32_u24_e32 v85, 10, v75
	v_fmac_f32_e32 v79, 0xbf737871, v82
	v_fmac_f32_e32 v72, 0x3f167918, v90
	;; [unrolled: 1-line block ×3, first 2 shown]
	v_add_f32_e32 v86, v44, v56
	v_add_f32_e32 v87, v91, v93
	;; [unrolled: 1-line block ×4, first 2 shown]
	v_lshl_add_u32 v98, v85, 2, 0
	v_fmac_f32_e32 v79, 0xbf167918, v81
	v_fmac_f32_e32 v72, 0x3e9e377a, v92
	v_mul_f32_e32 v82, 0x3f4f1bbd, v62
	v_sub_f32_e32 v81, v91, v93
	ds_write2_b64 v98, v[86:87], v[88:89] offset1:1
	v_fmac_f32_e32 v79, 0x3e9e377a, v83
	s_waitcnt vmcnt(13)
	v_add_f32_e32 v86, v26, v30
	v_fma_f32 v85, 0x3f167918, v72, -v82
	v_sub_f32_e32 v82, v80, v94
	s_waitcnt vmcnt(11)
	v_add_f32_e32 v80, v24, v28
	v_sub_f32_e32 v84, v56, v44
	v_fma_f32 v44, -0.5, v86, v16
	v_add_f32_e32 v83, v79, v85
	v_add_f32_e32 v56, v28, v16
	v_fmac_f32_e32 v16, -0.5, v80
	v_sub_f32_e32 v86, v31, v27
	v_sub_f32_e32 v80, v79, v85
	ds_write2_b64 v98, v[83:84], v[81:82] offset0:2 offset1:3
	v_sub_f32_e32 v79, v30, v28
	v_sub_f32_e32 v81, v26, v24
	v_fmamk_f32 v87, v86, 0xbf737871, v16
	v_sub_f32_e32 v82, v29, v25
	v_fmac_f32_e32 v16, 0x3f737871, v86
	v_sub_f32_e32 v83, v28, v30
	v_sub_f32_e32 v84, v24, v26
	v_add_f32_e32 v81, v81, v79
	v_fmac_f32_e32 v87, 0x3f167918, v82
	v_fmac_f32_e32 v16, 0xbf167918, v82
	v_sub_f32_e32 v79, v34, v54
	v_add_f32_e32 v34, v84, v83
	v_add_f32_e32 v54, v32, v36
	v_fmac_f32_e32 v87, 0x3e9e377a, v81
	s_waitcnt vmcnt(10)
	v_add_f32_e32 v83, v22, v60
	v_fmac_f32_e32 v16, 0x3e9e377a, v81
	v_sub_f32_e32 v81, v36, v60
	v_sub_f32_e32 v88, v32, v22
	;; [unrolled: 1-line block ×4, first 2 shown]
	v_fma_f32 v99, -0.5, v54, v20
	v_add_f32_e32 v54, v60, v20
	v_fmac_f32_e32 v20, -0.5, v83
	v_sub_f32_e32 v83, v37, v33
	v_add_f32_e32 v89, v33, v37
	v_add_f32_e32 v81, v88, v81
	;; [unrolled: 1-line block ×4, first 2 shown]
	v_fmamk_f32 v100, v83, 0xbf737871, v20
	v_sub_f32_e32 v85, v61, v23
	v_fma_f32 v101, -0.5, v89, v21
	v_add_f32_e32 v106, v61, v21
	v_fmac_f32_e32 v21, -0.5, v88
	v_sub_f32_e32 v88, v36, v32
	v_fmac_f32_e32 v20, 0x3f737871, v83
	v_fmac_f32_e32 v100, 0x3f167918, v85
	v_sub_f32_e32 v60, v60, v22
	v_sub_f32_e32 v89, v37, v61
	;; [unrolled: 1-line block ×3, first 2 shown]
	v_fmamk_f32 v107, v88, 0x3f737871, v21
	v_fmac_f32_e32 v21, 0xbf737871, v88
	v_fmamk_f32 v108, v85, 0x3f737871, v99
	v_add_f32_e32 v36, v36, v54
	v_fmac_f32_e32 v99, 0xbf737871, v85
	v_fmac_f32_e32 v20, 0xbf167918, v85
	v_sub_f32_e32 v61, v61, v37
	v_sub_f32_e32 v91, v23, v33
	v_add_f32_e32 v89, v90, v89
	v_fmac_f32_e32 v107, 0xbf167918, v60
	v_fmac_f32_e32 v100, 0x3e9e377a, v81
	;; [unrolled: 1-line block ×3, first 2 shown]
	v_add_f32_e32 v56, v30, v56
	v_fmamk_f32 v109, v60, 0xbf737871, v101
	v_fmac_f32_e32 v108, 0x3f167918, v83
	v_add_f32_e32 v32, v32, v36
	v_fmac_f32_e32 v101, 0x3f737871, v60
	v_fmac_f32_e32 v99, 0xbf167918, v83
	;; [unrolled: 1-line block ×3, first 2 shown]
	v_add_f32_e32 v81, v91, v61
	v_fmac_f32_e32 v107, 0x3e9e377a, v89
	v_fmac_f32_e32 v21, 0x3e9e377a, v89
	v_fmamk_f32 v89, v82, 0x3f737871, v44
	v_add_f32_e32 v54, v26, v56
	v_fmac_f32_e32 v109, 0xbf167918, v88
	v_fmac_f32_e32 v108, 0x3e9e377a, v84
	v_add_f32_e32 v22, v22, v32
	v_mul_f32_e32 v32, 0x3e9e377a, v100
	v_fmac_f32_e32 v44, 0xbf737871, v82
	v_fmac_f32_e32 v101, 0x3f167918, v88
	;; [unrolled: 1-line block ×4, first 2 shown]
	v_add_f32_e32 v36, v24, v54
	v_fmac_f32_e32 v109, 0x3e9e377a, v81
	v_mul_f32_e32 v54, 0x3f4f1bbd, v108
	v_mul_f32_e32 v56, 0x3e9e377a, v20
	v_fmac_f32_e32 v32, 0x3f737871, v107
	v_fmac_f32_e32 v44, 0xbf167918, v86
	;; [unrolled: 1-line block ×3, first 2 shown]
	v_mul_f32_e32 v81, 0x3f4f1bbd, v99
	v_fmac_f32_e32 v89, 0x3e9e377a, v34
	v_fmac_f32_e32 v54, 0x3f167918, v109
	v_fma_f32 v56, 0x3f737871, v21, -v56
	v_add_f32_e32 v60, v22, v36
	v_mul_i32_i24_e32 v82, 10, v76
	v_add_f32_e32 v83, v87, v32
	v_sub_f32_e32 v86, v87, v32
	v_sub_f32_e32 v88, v36, v22
	s_waitcnt vmcnt(3)
	v_add_f32_e32 v22, v8, v12
	s_waitcnt vmcnt(1)
	v_add_f32_e32 v32, v4, v10
	v_fmac_f32_e32 v44, 0x3e9e377a, v34
	v_fma_f32 v34, 0x3f167918, v101, -v81
	v_add_f32_e32 v61, v89, v54
	v_add_f32_e32 v84, v16, v56
	v_lshl_add_u32 v82, v82, 2, 0
	v_fma_f32 v22, -0.5, v22, v0
	v_add_f32_e32 v36, v10, v0
	v_fmac_f32_e32 v0, -0.5, v32
	v_sub_f32_e32 v32, v13, v9
	v_sub_f32_e32 v85, v89, v54
	v_add_f32_e32 v87, v44, v34
	ds_write_b64 v98, v[79:80] offset:32
	ds_write2_b64 v82, v[60:61], v[83:84] offset1:1
	ds_write2_b64 v82, v[87:88], v[85:86] offset0:2 offset1:3
	v_sub_f32_e32 v61, v44, v34
	v_sub_f32_e32 v60, v16, v56
	;; [unrolled: 1-line block ×4, first 2 shown]
	v_fmamk_f32 v44, v32, 0xbf737871, v0
	v_sub_f32_e32 v54, v11, v5
	v_sub_f32_e32 v56, v10, v12
	;; [unrolled: 1-line block ×3, first 2 shown]
	v_fmac_f32_e32 v0, 0x3f737871, v32
	v_add_f32_e32 v16, v34, v16
	v_fmac_f32_e32 v44, 0x3f167918, v54
	v_add_f32_e32 v34, v14, v18
	v_add_f32_e32 v56, v79, v56
	s_waitcnt vmcnt(0)
	v_add_f32_e32 v79, v6, v58
	v_fmac_f32_e32 v0, 0xbf167918, v54
	v_sub_f32_e32 v80, v58, v18
	v_sub_f32_e32 v81, v6, v14
	v_fmac_f32_e32 v44, 0x3e9e377a, v16
	v_fma_f32 v110, -0.5, v34, v2
	v_add_f32_e32 v34, v58, v2
	v_fmac_f32_e32 v2, -0.5, v79
	v_sub_f32_e32 v79, v19, v15
	v_fmac_f32_e32 v0, 0x3e9e377a, v16
	v_add_f32_e32 v16, v15, v19
	v_add_f32_e32 v80, v81, v80
	;; [unrolled: 1-line block ×3, first 2 shown]
	v_sub_f32_e32 v83, v18, v58
	v_sub_f32_e32 v84, v14, v6
	v_fmamk_f32 v111, v79, 0xbf737871, v2
	v_sub_f32_e32 v85, v59, v7
	v_fma_f32 v112, -0.5, v16, v3
	v_add_f32_e32 v113, v59, v3
	v_fmac_f32_e32 v3, -0.5, v81
	v_sub_f32_e32 v16, v18, v14
	v_fmac_f32_e32 v2, 0x3f737871, v79
	v_add_f32_e32 v83, v84, v83
	v_fmac_f32_e32 v111, 0x3f167918, v85
	v_sub_f32_e32 v58, v58, v6
	v_sub_f32_e32 v81, v19, v59
	;; [unrolled: 1-line block ×3, first 2 shown]
	v_fmamk_f32 v114, v16, 0x3f737871, v3
	v_fmac_f32_e32 v3, 0xbf737871, v16
	v_fmac_f32_e32 v2, 0xbf167918, v85
	;; [unrolled: 1-line block ×3, first 2 shown]
	v_add_f32_e32 v81, v84, v81
	v_fmac_f32_e32 v114, 0xbf167918, v58
	v_fmac_f32_e32 v3, 0x3f167918, v58
	v_add_f32_e32 v36, v12, v36
	v_fmamk_f32 v115, v85, 0x3f737871, v110
	v_sub_f32_e32 v59, v59, v19
	v_sub_f32_e32 v86, v7, v15
	v_fmac_f32_e32 v2, 0x3e9e377a, v83
	v_fmac_f32_e32 v114, 0x3e9e377a, v81
	;; [unrolled: 1-line block ×4, first 2 shown]
	v_fmamk_f32 v116, v58, 0xbf737871, v112
	v_fmac_f32_e32 v112, 0x3f737871, v58
	v_fmamk_f32 v81, v54, 0x3f737871, v22
	v_fmac_f32_e32 v115, 0x3f167918, v79
	v_add_f32_e32 v18, v18, v34
	v_add_f32_e32 v34, v8, v36
	v_fmac_f32_e32 v22, 0xbf737871, v54
	v_mul_f32_e32 v36, 0x3e9e377a, v111
	v_add_f32_e32 v83, v86, v59
	v_fmac_f32_e32 v116, 0xbf167918, v16
	v_fmac_f32_e32 v81, 0x3f167918, v32
	;; [unrolled: 1-line block ×3, first 2 shown]
	v_add_f32_e32 v14, v14, v18
	v_fmac_f32_e32 v110, 0xbf167918, v79
	v_fmac_f32_e32 v112, 0x3f167918, v16
	v_mul_f32_e32 v16, 0x3e9e377a, v2
	v_fmac_f32_e32 v36, 0x3f737871, v114
	v_fmac_f32_e32 v22, 0xbf167918, v32
	v_mul_i32_i24_e32 v32, 10, v77
	v_add_f32_e32 v18, v4, v34
	v_fmac_f32_e32 v116, 0x3e9e377a, v83
	v_mul_f32_e32 v34, 0x3f4f1bbd, v115
	v_add_f32_e32 v6, v6, v14
	v_fma_f32 v14, 0x3f737871, v3, -v16
	v_fmac_f32_e32 v110, 0x3e9e377a, v80
	v_fmac_f32_e32 v112, 0x3e9e377a, v83
	v_sub_f32_e32 v80, v44, v36
	v_add_f32_e32 v84, v44, v36
	v_lshl_add_u32 v83, v32, 2, 0
	v_add_f32_e32 v32, v49, v53
	v_add_f32_e32 v44, v47, v51
	v_fmac_f32_e32 v81, 0x3e9e377a, v56
	v_fmac_f32_e32 v34, 0x3f167918, v116
	v_add_f32_e32 v58, v6, v18
	v_add_f32_e32 v85, v0, v14
	v_sub_f32_e32 v87, v18, v6
	v_add_f32_e32 v6, v57, v78
	v_add_f32_e32 v18, v51, v35
	v_sub_f32_e32 v117, v52, v48
	v_sub_f32_e32 v118, v50, v46
	;; [unrolled: 1-line block ×3, first 2 shown]
	v_fma_f32 v0, -0.5, v32, v35
	v_fmac_f32_e32 v35, -0.5, v44
	v_add_f32_e32 v59, v81, v34
	v_sub_f32_e32 v79, v81, v34
	v_add_f32_e32 v6, v55, v6
	v_add_f32_e32 v18, v53, v18
	v_sub_f32_e32 v34, v51, v53
	v_sub_f32_e32 v36, v53, v51
	;; [unrolled: 1-line block ×4, first 2 shown]
	v_fmamk_f32 v122, v117, 0x3f737871, v35
	v_fmamk_f32 v124, v118, 0xbf737871, v0
	v_fmac_f32_e32 v35, 0xbf737871, v117
	v_mul_f32_e32 v16, 0x3f4f1bbd, v110
	v_add_f32_e32 v18, v49, v18
	v_mul_f32_e32 v39, 0x3e9e377a, v39
	v_add_f32_e32 v120, v45, v6
	v_add_f32_e32 v123, v46, v34
	;; [unrolled: 1-line block ×3, first 2 shown]
	v_fmac_f32_e32 v122, 0xbf167918, v118
	v_mul_f32_e32 v125, 0xbf167918, v64
	v_fmac_f32_e32 v124, 0xbf167918, v117
	v_mul_f32_e32 v126, 0xbf737871, v73
	v_fmac_f32_e32 v35, 0x3f167918, v118
	v_fmac_f32_e32 v0, 0x3f737871, v118
	;; [unrolled: 1-line block ×3, first 2 shown]
	v_fma_f32 v16, 0x3f167918, v112, -v16
	v_add_f32_e32 v119, v47, v18
	v_fma_f32 v121, 0xbf737871, v38, -v39
	v_fmac_f32_e32 v122, 0x3e9e377a, v6
	v_fmac_f32_e32 v125, 0x3f4f1bbd, v74
	v_fmac_f32_e32 v124, 0x3e9e377a, v123
	v_fmac_f32_e32 v126, 0x3e9e377a, v63
	v_fmac_f32_e32 v35, 0x3e9e377a, v6
	v_fmac_f32_e32 v0, 0x3f167918, v117
	v_mul_f32_e32 v72, 0x3f4f1bbd, v72
	v_mad_i32_i24 v78, 0xffffffdc, v75, v98
	v_add_f32_e32 v86, v22, v16
	v_sub_f32_e32 v49, v22, v16
	v_add_f32_e32 v102, v120, v119
	v_add_f32_e32 v103, v124, v125
	;; [unrolled: 1-line block ×4, first 2 shown]
	v_mad_i32_i24 v95, 0xffffffdc, v77, v83
	v_lshl_add_u32 v73, v69, 2, 0
	v_lshl_add_u32 v96, v68, 2, 0
	v_fmac_f32_e32 v0, 0x3e9e377a, v123
	v_fma_f32 v62, 0xbf167918, v62, -v72
	v_mad_i32_i24 v94, 0xffffffdc, v76, v82
	v_lshl_add_u32 v74, v71, 2, 0
	v_lshl_add_u32 v97, v70, 2, 0
	;; [unrolled: 1-line block ×3, first 2 shown]
	ds_write_b64 v82, v[60:61] offset:32
	ds_write2_b64 v83, v[58:59], v[84:85] offset1:1
	ds_write2_b64 v83, v[86:87], v[79:80] offset0:2 offset1:3
	v_add_nc_u32_e32 v89, 0xe00, v78
	v_lshl_add_u32 v79, v67, 2, 0
	v_add_nc_u32_e32 v90, 0x1e00, v78
	v_lshl_add_u32 v80, v66, 2, 0
	ds_write_b64 v83, v[48:49] offset:32
	s_load_dwordx2 s[0:1], s[4:5], 0x0
	s_waitcnt lgkmcnt(0)
	s_barrier
	buffer_gl0_inv
	v_add_nc_u32_e32 v84, 0x1200, v78
	v_add_nc_u32_e32 v85, 0x2000, v78
	v_add_nc_u32_e32 v91, 0x1400, v78
	v_add_nc_u32_e32 v86, 0x2400, v78
	ds_read_b32 v32, v73
	ds_read_b32 v16, v74
	ds_read_b32 v63, v78
	ds_read_b32 v34, v79
	ds_read_b32 v18, v80
	v_add_nc_u32_e32 v92, 0x1800, v78
	v_add_nc_u32_e32 v93, 0x2800, v78
	ds_read_b32 v22, v96
	ds_read_b32 v14, v97
	v_add_nc_u32_e32 v87, 0x1c00, v78
	v_add_nc_u32_e32 v88, 0x2a00, v78
	ds_read_b32 v36, v95
	ds_read_b32 v64, v94
	;; [unrolled: 1-line block ×3, first 2 shown]
	ds_read2_b32 v[60:61], v89 offset0:104 offset1:204
	ds_read2_b32 v[58:59], v90 offset0:80 offset1:180
	;; [unrolled: 1-line block ×10, first 2 shown]
	s_waitcnt lgkmcnt(0)
	s_barrier
	buffer_gl0_inv
	ds_write2_b64 v98, v[102:103], v[104:105] offset1:1
	v_sub_f32_e32 v102, v124, v125
	v_sub_f32_e32 v103, v122, v126
	v_sub_f32_e32 v105, v119, v120
	v_add_f32_e32 v104, v0, v62
	v_add_f32_e32 v37, v37, v106
	;; [unrolled: 1-line block ×3, first 2 shown]
	v_sub_f32_e32 v26, v30, v26
	v_add_f32_e32 v30, v25, v29
	ds_write2_b64 v98, v[104:105], v[102:103] offset0:2 offset1:3
	v_sub_f32_e32 v102, v35, v121
	v_sub_f32_e32 v103, v0, v62
	v_add_f32_e32 v0, v33, v37
	v_add_f32_e32 v33, v31, v72
	;; [unrolled: 1-line block ×3, first 2 shown]
	v_sub_f32_e32 v37, v29, v31
	v_sub_f32_e32 v29, v31, v29
	;; [unrolled: 1-line block ×3, first 2 shown]
	v_add_f32_e32 v31, v27, v33
	v_fma_f32 v33, -0.5, v35, v17
	v_fmac_f32_e32 v17, -0.5, v30
	v_sub_f32_e32 v28, v25, v27
	v_sub_f32_e32 v27, v27, v25
	v_add_f32_e32 v30, v25, v31
	v_mul_f32_e32 v21, 0x3e9e377a, v21
	v_fmamk_f32 v31, v26, 0x3f737871, v17
	v_fmac_f32_e32 v17, 0xbf737871, v26
	v_fmamk_f32 v25, v24, 0xbf737871, v33
	v_add_f32_e32 v0, v23, v0
	v_add_f32_e32 v23, v27, v29
	v_fmac_f32_e32 v31, 0xbf167918, v24
	v_fma_f32 v29, 0xbf737871, v20, -v21
	v_add_f32_e32 v20, v28, v37
	v_fmac_f32_e32 v17, 0x3f167918, v24
	v_fmac_f32_e32 v33, 0x3f737871, v24
	v_mul_f32_e32 v24, 0xbf167918, v108
	v_fmac_f32_e32 v25, 0xbf167918, v26
	v_mul_f32_e32 v27, 0xbf737871, v100
	v_fmac_f32_e32 v31, 0x3e9e377a, v23
	v_fmac_f32_e32 v17, 0x3e9e377a, v23
	;; [unrolled: 1-line block ×6, first 2 shown]
	v_mul_f32_e32 v26, 0x3f4f1bbd, v101
	v_fmac_f32_e32 v33, 0x3e9e377a, v20
	v_add_f32_e32 v20, v0, v30
	v_add_f32_e32 v21, v25, v24
	v_sub_f32_e32 v23, v25, v24
	v_fma_f32 v35, 0xbf167918, v99, -v26
	v_add_f32_e32 v25, v31, v27
	v_add_f32_e32 v26, v17, v29
	v_sub_f32_e32 v28, v30, v0
	ds_write_b64 v98, v[102:103] offset:32
	ds_write2_b64 v82, v[20:21], v[25:26] offset1:1
	v_add_f32_e32 v0, v19, v113
	v_add_f32_e32 v21, v11, v1
	v_sub_f32_e32 v19, v17, v29
	v_add_f32_e32 v17, v9, v13
	v_sub_f32_e32 v8, v12, v8
	v_add_f32_e32 v0, v15, v0
	v_add_f32_e32 v15, v13, v21
	v_sub_f32_e32 v12, v11, v13
	v_sub_f32_e32 v13, v13, v11
	;; [unrolled: 1-line block ×3, first 2 shown]
	v_add_f32_e32 v11, v5, v11
	v_add_f32_e32 v10, v9, v15
	v_fma_f32 v17, -0.5, v17, v1
	v_sub_f32_e32 v15, v5, v9
	v_sub_f32_e32 v9, v9, v5
	v_fmac_f32_e32 v1, -0.5, v11
	v_add_f32_e32 v5, v5, v10
	v_add_f32_e32 v10, v7, v0
	v_mul_f32_e32 v0, 0x3e9e377a, v3
	v_fmamk_f32 v11, v4, 0xbf737871, v17
	v_fmac_f32_e32 v17, 0x3f737871, v4
	v_add_f32_e32 v3, v15, v12
	v_fmamk_f32 v7, v8, 0x3f737871, v1
	v_fmac_f32_e32 v1, 0xbf737871, v8
	v_fmac_f32_e32 v11, 0xbf167918, v8
	v_fmac_f32_e32 v17, 0x3f167918, v8
	v_fma_f32 v12, 0xbf737871, v2, -v0
	v_and_b32_e32 v0, 0xff, v75
	v_add_f32_e32 v8, v9, v13
	v_fmac_f32_e32 v7, 0xbf167918, v4
	v_fmac_f32_e32 v1, 0x3f167918, v4
	v_fmac_f32_e32 v11, 0x3e9e377a, v3
	v_fmac_f32_e32 v17, 0x3e9e377a, v3
	v_mul_f32_e32 v13, 0xbf737871, v111
	v_mul_lo_u16 v3, 0xcd, v0
	v_fmac_f32_e32 v7, 0x3e9e377a, v8
	v_mul_f32_e32 v4, 0xbf167918, v115
	v_mul_f32_e32 v2, 0x3f4f1bbd, v112
	v_fmac_f32_e32 v1, 0x3e9e377a, v8
	v_fmac_f32_e32 v13, 0x3e9e377a, v114
	v_lshrrev_b16 v9, 11, v3
	v_sub_f32_e32 v24, v31, v27
	v_add_f32_e32 v27, v33, v35
	v_fmac_f32_e32 v4, 0x3f4f1bbd, v116
	v_fma_f32 v15, 0xbf167918, v110, -v2
	v_add_f32_e32 v2, v1, v12
	v_sub_f32_e32 v3, v1, v12
	v_add_f32_e32 v1, v7, v13
	v_sub_f32_e32 v8, v7, v13
	v_mul_lo_u16 v13, v9, 10
	ds_write2_b64 v82, v[27:28], v[23:24] offset0:2 offset1:3
	v_sub_f32_e32 v20, v33, v35
	v_sub_f32_e32 v7, v11, v4
	v_add_f32_e32 v12, v11, v4
	v_add_f32_e32 v11, v10, v5
	v_sub_f32_e32 v24, v5, v10
	v_sub_nc_u16 v10, v75, v13
	v_mov_b32_e32 v29, 4
	v_add_f32_e32 v23, v17, v15
	v_sub_f32_e32 v4, v17, v15
	ds_write_b64 v82, v[19:20] offset:32
	ds_write2_b64 v83, v[11:12], v[1:2] offset1:1
	ds_write2_b64 v83, v[23:24], v[7:8] offset0:2 offset1:3
	v_lshlrev_b32_sdwa v1, v29, v10 dst_sel:DWORD dst_unused:UNUSED_PAD src0_sel:DWORD src1_sel:BYTE_0
	v_mov_b32_e32 v31, 0xcccd
	ds_write_b64 v83, v[3:4] offset:32
	s_waitcnt lgkmcnt(0)
	s_barrier
	buffer_gl0_inv
	global_load_dwordx4 v[2:5], v1, s[12:13]
	v_and_b32_e32 v1, 0xff, v76
	v_mul_u32_u24_sdwa v13, v67, v31 dst_sel:DWORD dst_unused:UNUSED_PAD src0_sel:WORD_0 src1_sel:DWORD
	v_mul_u32_u24_sdwa v20, v71, v31 dst_sel:DWORD dst_unused:UNUSED_PAD src0_sel:WORD_0 src1_sel:DWORD
	;; [unrolled: 1-line block ×3, first 2 shown]
	v_mul_lo_u16 v0, 0x89, v0
	v_mul_lo_u16 v7, 0xcd, v1
	;; [unrolled: 1-line block ×3, first 2 shown]
	v_lshrrev_b32_e32 v110, 19, v33
	v_lshrrev_b16 v7, 11, v7
	v_mul_lo_u16 v8, v7, 10
	v_sub_nc_u16 v8, v76, v8
	v_lshlrev_b32_sdwa v11, v29, v8 dst_sel:DWORD dst_unused:UNUSED_PAD src0_sel:DWORD src1_sel:BYTE_0
	global_load_dwordx4 v[23:26], v11, s[12:13]
	v_mul_u32_u24_sdwa v11, v77, v31 dst_sel:DWORD dst_unused:UNUSED_PAD src0_sel:WORD_0 src1_sel:DWORD
	v_lshrrev_b32_e32 v12, 19, v11
	v_mul_lo_u16 v11, v12, 10
	v_mul_u32_u24_e32 v12, 0x78, v12
	v_sub_nc_u16 v15, v77, v11
	v_lshrrev_b32_e32 v11, 19, v13
	v_lshlrev_b32_sdwa v13, v29, v15 dst_sel:DWORD dst_unused:UNUSED_PAD src0_sel:DWORD src1_sel:WORD_0
	v_mul_lo_u16 v17, v11, 10
	v_mul_u32_u24_e32 v11, 0x78, v11
	global_load_dwordx4 v[98:101], v13, s[12:13]
	v_sub_nc_u16 v17, v67, v17
	v_lshlrev_b32_sdwa v19, v29, v17 dst_sel:DWORD dst_unused:UNUSED_PAD src0_sel:DWORD src1_sel:WORD_0
	global_load_dwordx4 v[116:119], v19, s[12:13]
	v_mul_u32_u24_sdwa v13, v69, v31 dst_sel:DWORD dst_unused:UNUSED_PAD src0_sel:WORD_0 src1_sel:DWORD
	v_lshrrev_b32_e32 v19, 19, v20
	v_lshrrev_b32_e32 v13, 19, v13
	v_mul_lo_u16 v20, v19, 10
	v_mul_u32_u24_e32 v19, 0x78, v19
	v_mul_lo_u16 v21, v13, 10
	v_sub_nc_u16 v71, v71, v20
	v_mul_u32_u24_sdwa v20, v68, v31 dst_sel:DWORD dst_unused:UNUSED_PAD src0_sel:WORD_0 src1_sel:DWORD
	v_mul_u32_u24_e32 v13, 0x78, v13
	v_sub_nc_u16 v30, v69, v21
	v_mul_u32_u24_sdwa v21, v66, v31 dst_sel:DWORD dst_unused:UNUSED_PAD src0_sel:WORD_0 src1_sel:DWORD
	v_lshlrev_b32_sdwa v28, v29, v71 dst_sel:DWORD dst_unused:UNUSED_PAD src0_sel:DWORD src1_sel:WORD_0
	v_lshrrev_b32_e32 v72, 19, v20
	v_mul_u32_u24_sdwa v31, v65, v31 dst_sel:DWORD dst_unused:UNUSED_PAD src0_sel:WORD_0 src1_sel:DWORD
	v_lshlrev_b32_sdwa v27, v29, v30 dst_sel:DWORD dst_unused:UNUSED_PAD src0_sel:DWORD src1_sel:WORD_0
	v_lshrrev_b32_e32 v62, 19, v21
	global_load_dwordx4 v[124:127], v28, s[12:13]
	v_mul_lo_u16 v35, v72, 10
	ds_read2_b32 v[20:21], v89 offset0:104 offset1:204
	global_load_dwordx4 v[120:123], v27, s[12:13]
	v_mul_lo_u16 v27, v62, 10
	v_lshrrev_b32_e32 v112, 19, v31
	v_sub_nc_u16 v111, v68, v35
	v_mul_lo_u16 v35, v110, 10
	v_sub_nc_u16 v102, v66, v27
	ds_read2_b32 v[27:28], v90 offset0:80 offset1:180
	v_lshlrev_b32_sdwa v31, v29, v111 dst_sel:DWORD dst_unused:UNUSED_PAD src0_sel:DWORD src1_sel:WORD_0
	v_sub_nc_u16 v144, v70, v35
	v_lshlrev_b32_sdwa v33, v29, v102 dst_sel:DWORD dst_unused:UNUSED_PAD src0_sel:DWORD src1_sel:WORD_0
	global_load_dwordx4 v[132:135], v31, s[12:13]
	v_lshlrev_b32_sdwa v35, v29, v144 dst_sel:DWORD dst_unused:UNUSED_PAD src0_sel:DWORD src1_sel:WORD_0
	global_load_dwordx4 v[128:131], v33, s[12:13]
	v_mul_lo_u16 v33, v112, 10
	global_load_dwordx4 v[136:139], v35, s[12:13]
	v_sub_nc_u16 v145, v65, v33
	s_waitcnt vmcnt(8) lgkmcnt(1)
	v_mul_f32_e32 v31, v20, v3
	v_mul_f32_e32 v146, v60, v3
	s_waitcnt lgkmcnt(0)
	v_mul_f32_e32 v3, v27, v5
	v_mul_f32_e32 v147, v58, v5
	v_lshlrev_b32_sdwa v5, v29, v145 dst_sel:DWORD dst_unused:UNUSED_PAD src0_sel:DWORD src1_sel:WORD_0
	v_fma_f32 v60, v60, v2, -v31
	v_fmac_f32_e32 v146, v20, v2
	v_fma_f32 v58, v58, v4, -v3
	v_fmac_f32_e32 v147, v27, v4
	global_load_dwordx4 v[140:143], v5, s[12:13]
	ds_read2_b32 v[4:5], v85 offset0:152 offset1:252
	s_waitcnt vmcnt(8)
	v_mul_f32_e32 v2, v21, v24
	v_mul_f32_e32 v20, v28, v26
	;; [unrolled: 1-line block ×4, first 2 shown]
	v_fma_f32 v109, v61, v23, -v2
	ds_read2_b32 v[2:3], v84 offset0:48 offset1:148
	v_fma_f32 v115, v59, v25, -v20
	v_fmac_f32_e32 v113, v21, v23
	v_fmac_f32_e32 v114, v28, v25
	ds_read2_b32 v[25:26], v86 offset0:96 offset1:196
	s_waitcnt vmcnt(7) lgkmcnt(1)
	v_mul_f32_e32 v20, v2, v99
	v_mul_f32_e32 v70, v56, v99
	;; [unrolled: 1-line block ×4, first 2 shown]
	v_fma_f32 v103, v56, v98, -v20
	ds_read2_b32 v[20:21], v91 offset0:120 offset1:220
	v_fmac_f32_e32 v70, v2, v98
	v_fma_f32 v104, v54, v100, -v23
	v_fmac_f32_e32 v67, v4, v100
	v_mov_b32_e32 v98, 2
	s_waitcnt vmcnt(6)
	v_mul_f32_e32 v2, v3, v117
	v_mul_f32_e32 v107, v57, v117
	v_mul_f32_e32 v105, v55, v119
	v_lshlrev_b32_sdwa v10, v98, v10 dst_sel:DWORD dst_unused:UNUSED_PAD src0_sel:DWORD src1_sel:BYTE_0
	v_fma_f32 v106, v57, v116, -v2
	v_mul_f32_e32 v2, v5, v119
	v_fmac_f32_e32 v107, v3, v116
	v_fmac_f32_e32 v105, v5, v118
	ds_read2_b32 v[4:5], v93 offset0:40 offset1:140
	v_lshlrev_b32_sdwa v8, v98, v8 dst_sel:DWORD dst_unused:UNUSED_PAD src0_sel:DWORD src1_sel:BYTE_0
	v_fma_f32 v108, v55, v118, -v2
	ds_read2_b32 v[2:3], v92 offset0:64 offset1:164
	ds_read2_b32 v[54:55], v87 offset0:8 offset1:108
	v_lshlrev_b32_sdwa v15, v98, v15 dst_sel:DWORD dst_unused:UNUSED_PAD src0_sel:DWORD src1_sel:WORD_0
	v_lshlrev_b32_sdwa v17, v98, v17 dst_sel:DWORD dst_unused:UNUSED_PAD src0_sel:DWORD src1_sel:WORD_0
	;; [unrolled: 1-line block ×3, first 2 shown]
	v_add3_u32 v11, 0, v11, v17
	s_waitcnt vmcnt(5)
	v_mul_f32_e32 v65, v51, v127
	v_mul_f32_e32 v68, v53, v125
	s_waitcnt vmcnt(4) lgkmcnt(3)
	v_mul_f32_e32 v23, v20, v121
	v_mul_f32_e32 v27, v25, v123
	;; [unrolled: 1-line block ×4, first 2 shown]
	v_fmac_f32_e32 v68, v21, v124
	v_fma_f32 v33, v52, v120, -v23
	v_mul_f32_e32 v23, v26, v127
	v_fma_f32 v37, v50, v122, -v27
	v_fmac_f32_e32 v29, v20, v120
	v_mul_f32_e32 v20, v21, v125
	v_fmac_f32_e32 v65, v26, v126
	v_fma_f32 v101, v51, v126, -v23
	ds_read2_b32 v[50:51], v88 offset0:112 offset1:212
	v_fmac_f32_e32 v24, v25, v122
	v_fma_f32 v69, v53, v124, -v20
	s_waitcnt vmcnt(3)
	v_mul_f32_e32 v31, v49, v133
	s_waitcnt vmcnt(2)
	v_mul_f32_e32 v23, v48, v129
	v_mul_f32_e32 v20, v46, v131
	s_waitcnt lgkmcnt(2)
	v_mul_f32_e32 v21, v2, v129
	v_mul_f32_e32 v27, v4, v131
	s_waitcnt vmcnt(1) lgkmcnt(1)
	v_mul_f32_e32 v26, v54, v137
	v_fmac_f32_e32 v23, v2, v128
	v_fmac_f32_e32 v20, v4, v130
	v_mul_f32_e32 v2, v3, v133
	v_mul_f32_e32 v4, v5, v135
	v_fma_f32 v25, v48, v128, -v21
	v_mul_f32_e32 v21, v47, v135
	v_fma_f32 v28, v46, v130, -v27
	v_fma_f32 v35, v49, v132, -v2
	;; [unrolled: 1-line block ×4, first 2 shown]
	v_mul_f32_e32 v26, v44, v137
	s_waitcnt lgkmcnt(0)
	v_mul_f32_e32 v4, v50, v139
	v_fmac_f32_e32 v31, v3, v132
	v_fmac_f32_e32 v21, v5, v134
	v_mul_f32_e32 v27, v38, v139
	v_sub_f32_e32 v46, v146, v147
	v_fma_f32 v5, v38, v138, -v4
	v_add_f32_e32 v48, v109, v115
	v_add_f32_e32 v17, v33, v37
	v_fmac_f32_e32 v26, v54, v136
	v_fmac_f32_e32 v27, v50, v138
	s_waitcnt vmcnt(0)
	v_mul_f32_e32 v44, v55, v141
	v_mul_f32_e32 v3, v45, v141
	;; [unrolled: 1-line block ×4, first 2 shown]
	v_fma_f32 v4, v45, v140, -v44
	v_mov_b32_e32 v44, 0x78
	v_add_f32_e32 v45, v60, v58
	v_fma_f32 v118, v39, v142, -v38
	v_add_f32_e32 v39, v63, v60
	v_fmac_f32_e32 v3, v55, v140
	v_mul_u32_u24_sdwa v9, v9, v44 dst_sel:DWORD dst_unused:UNUSED_PAD src0_sel:WORD_0 src1_sel:DWORD
	v_fmac_f32_e32 v63, -0.5, v45
	v_mul_u32_u24_sdwa v7, v7, v44 dst_sel:DWORD dst_unused:UNUSED_PAD src0_sel:WORD_0 src1_sel:DWORD
	v_add_f32_e32 v45, v39, v58
	v_sub_f32_e32 v44, v113, v114
	v_add3_u32 v119, 0, v9, v10
	v_fmamk_f32 v47, v46, 0x3f5db3d7, v63
	v_fmac_f32_e32 v63, 0xbf5db3d7, v46
	v_add_f32_e32 v46, v64, v109
	v_fmac_f32_e32 v64, -0.5, v48
	ds_read_b32 v38, v74
	ds_read_b32 v10, v96
	;; [unrolled: 1-line block ×10, first 2 shown]
	s_waitcnt lgkmcnt(0)
	s_barrier
	buffer_gl0_inv
	ds_write2_b32 v119, v45, v47 offset1:10
	ds_write_b32 v119, v63 offset:80
	v_add3_u32 v7, 0, v7, v8
	v_add_f32_e32 v8, v46, v115
	v_fmamk_f32 v45, v44, 0x3f5db3d7, v64
	v_add_f32_e32 v46, v103, v104
	v_fmac_f32_e32 v64, 0xbf5db3d7, v44
	v_add_f32_e32 v44, v36, v103
	ds_write2_b32 v7, v8, v45 offset1:10
	ds_write_b32 v7, v64 offset:80
	v_fmac_f32_e32 v36, -0.5, v46
	v_sub_f32_e32 v46, v70, v67
	v_add3_u32 v8, 0, v12, v15
	v_add_f32_e32 v12, v44, v104
	v_add_f32_e32 v44, v106, v108
	;; [unrolled: 1-line block ×3, first 2 shown]
	v_fmamk_f32 v15, v46, 0x3f5db3d7, v36
	v_fmac_f32_e32 v36, 0xbf5db3d7, v46
	ds_write2_b32 v8, v12, v15 offset1:10
	ds_write_b32 v8, v36 offset:80
	v_fmac_f32_e32 v34, -0.5, v44
	v_sub_f32_e32 v44, v107, v105
	v_add_f32_e32 v12, v45, v108
	v_add_f32_e32 v36, v32, v33
	v_fmac_f32_e32 v32, -0.5, v17
	v_sub_f32_e32 v17, v29, v24
	v_fmamk_f32 v15, v44, 0x3f5db3d7, v34
	v_fmac_f32_e32 v34, 0xbf5db3d7, v44
	ds_write2_b32 v11, v12, v15 offset1:10
	ds_write_b32 v11, v34 offset:80
	v_add3_u32 v12, 0, v13, v30
	v_add_f32_e32 v13, v36, v37
	v_fmamk_f32 v15, v17, 0x3f5db3d7, v32
	v_fmac_f32_e32 v32, 0xbf5db3d7, v17
	v_add_f32_e32 v17, v69, v101
	v_lshlrev_b32_sdwa v30, v98, v71 dst_sel:DWORD dst_unused:UNUSED_PAD src0_sel:DWORD src1_sel:WORD_0
	v_add_f32_e32 v34, v16, v69
	ds_write2_b32 v12, v13, v15 offset1:10
	ds_write_b32 v12, v32 offset:80
	v_fmac_f32_e32 v16, -0.5, v17
	v_add3_u32 v13, 0, v19, v30
	v_sub_f32_e32 v17, v68, v65
	v_mul_u32_u24_e32 v30, 0x78, v62
	v_lshlrev_b32_sdwa v32, v98, v102 dst_sel:DWORD dst_unused:UNUSED_PAD src0_sel:DWORD src1_sel:WORD_0
	v_add_f32_e32 v19, v25, v28
	v_add_f32_e32 v15, v34, v101
	;; [unrolled: 1-line block ×3, first 2 shown]
	v_fmamk_f32 v36, v17, 0x3f5db3d7, v16
	v_fmac_f32_e32 v16, 0xbf5db3d7, v17
	v_add3_u32 v17, 0, v30, v32
	v_add_f32_e32 v30, v35, v66
	v_fmac_f32_e32 v18, -0.5, v19
	v_sub_f32_e32 v32, v23, v20
	v_add_f32_e32 v19, v34, v28
	v_add_f32_e32 v34, v22, v35
	v_mul_u32_u24_e32 v44, 0x78, v72
	v_lshlrev_b32_sdwa v45, v98, v111 dst_sel:DWORD dst_unused:UNUSED_PAD src0_sel:DWORD src1_sel:WORD_0
	v_fmac_f32_e32 v22, -0.5, v30
	v_sub_f32_e32 v30, v31, v21
	v_fmamk_f32 v46, v32, 0x3f5db3d7, v18
	v_fmac_f32_e32 v18, 0xbf5db3d7, v32
	v_add3_u32 v32, 0, v44, v45
	v_add_f32_e32 v34, v34, v66
	v_fmamk_f32 v44, v30, 0x3f5db3d7, v22
	ds_write2_b32 v13, v15, v36 offset1:10
	ds_write_b32 v13, v16 offset:80
	ds_write2_b32 v17, v19, v46 offset1:10
	ds_write_b32 v17, v18 offset:80
	ds_write2_b32 v32, v34, v44 offset1:10
	v_add_f32_e32 v15, v2, v5
	v_mul_u32_u24_e32 v16, 0x78, v110
	v_lshlrev_b32_sdwa v18, v98, v144 dst_sel:DWORD dst_unused:UNUSED_PAD src0_sel:DWORD src1_sel:WORD_0
	v_add_f32_e32 v19, v14, v2
	v_fmac_f32_e32 v117, v51, v142
	v_fmac_f32_e32 v22, 0xbf5db3d7, v30
	v_fmac_f32_e32 v14, -0.5, v15
	v_sub_f32_e32 v15, v26, v27
	v_add3_u32 v16, 0, v16, v18
	v_add_f32_e32 v18, v19, v5
	v_add_f32_e32 v19, v4, v118
	ds_write_b32 v32, v22 offset:80
	v_fmamk_f32 v22, v15, 0x3f5db3d7, v14
	v_add_f32_e32 v30, v6, v4
	v_mul_u32_u24_e32 v34, 0x78, v112
	v_lshlrev_b32_sdwa v36, v98, v145 dst_sel:DWORD dst_unused:UNUSED_PAD src0_sel:DWORD src1_sel:WORD_0
	v_fmac_f32_e32 v6, -0.5, v19
	v_sub_f32_e32 v19, v3, v117
	ds_write2_b32 v16, v18, v22 offset1:10
	v_fmac_f32_e32 v14, 0xbf5db3d7, v15
	v_add3_u32 v15, 0, v34, v36
	v_add_f32_e32 v18, v30, v118
	v_fmamk_f32 v22, v19, 0x3f5db3d7, v6
	v_add_f32_e32 v34, v146, v147
	v_fmac_f32_e32 v6, 0xbf5db3d7, v19
	v_add_f32_e32 v30, v120, v146
	ds_write_b32 v16, v14 offset:80
	ds_write2_b32 v15, v18, v22 offset1:10
	v_fmac_f32_e32 v120, -0.5, v34
	v_sub_f32_e32 v18, v60, v58
	ds_write_b32 v15, v6 offset:80
	v_add_f32_e32 v6, v113, v114
	v_add_f32_e32 v14, v30, v147
	v_add_f32_e32 v19, v124, v113
	v_fmamk_f32 v22, v18, 0xbf5db3d7, v120
	v_fmac_f32_e32 v120, 0x3f5db3d7, v18
	v_fmac_f32_e32 v124, -0.5, v6
	v_sub_f32_e32 v6, v109, v115
	s_waitcnt lgkmcnt(0)
	s_barrier
	buffer_gl0_inv
	v_add_nc_u32_e32 v96, 0x400, v78
	v_add_nc_u32_e32 v97, 0xa00, v78
	ds_read_b32 v102, v78
	ds_read_b32 v112, v79
	;; [unrolled: 1-line block ×6, first 2 shown]
	ds_read2_b32 v[62:63], v84 offset0:48 offset1:148
	ds_read2_b32 v[58:59], v91 offset0:120 offset1:220
	ds_read2_b32 v[56:57], v87 offset0:8 offset1:108
	ds_read2_b32 v[52:53], v90 offset0:80 offset1:180
	ds_read2_b32 v[48:49], v86 offset0:96 offset1:196
	ds_read2_b32 v[44:45], v93 offset0:40 offset1:140
	ds_read2_b32 v[73:74], v96 offset0:144 offset1:244
	ds_read2_b32 v[71:72], v97 offset0:60 offset1:160
	ds_read2_b32 v[60:61], v89 offset0:104 offset1:204
	ds_read2_b32 v[54:55], v92 offset0:64 offset1:164
	ds_read2_b32 v[50:51], v85 offset0:152 offset1:252
	ds_read2_b32 v[46:47], v88 offset0:112 offset1:212
	s_waitcnt lgkmcnt(0)
	s_barrier
	v_add_f32_e32 v18, v19, v114
	v_fmamk_f32 v19, v6, 0xbf5db3d7, v124
	buffer_gl0_inv
	ds_write2_b32 v119, v14, v22 offset1:10
	ds_write_b32 v119, v120 offset:80
	v_add_f32_e32 v14, v70, v67
	v_fmac_f32_e32 v124, 0x3f5db3d7, v6
	ds_write2_b32 v7, v18, v19 offset1:10
	v_add_f32_e32 v18, v123, v70
	v_add_f32_e32 v6, v107, v105
	v_fmac_f32_e32 v123, -0.5, v14
	v_sub_f32_e32 v14, v103, v104
	v_add_f32_e32 v19, v121, v107
	v_add_f32_e32 v18, v18, v67
	v_fmac_f32_e32 v121, -0.5, v6
	v_sub_f32_e32 v6, v106, v108
	v_fmamk_f32 v22, v14, 0xbf5db3d7, v123
	v_fmac_f32_e32 v123, 0x3f5db3d7, v14
	ds_write_b32 v7, v124 offset:80
	ds_write2_b32 v8, v18, v22 offset1:10
	ds_write_b32 v8, v123 offset:80
	v_add_f32_e32 v7, v29, v24
	v_add_f32_e32 v14, v19, v105
	v_fmamk_f32 v19, v6, 0xbf5db3d7, v121
	v_fmac_f32_e32 v121, 0x3f5db3d7, v6
	v_add_f32_e32 v6, v68, v65
	v_add_f32_e32 v8, v122, v29
	v_fmac_f32_e32 v122, -0.5, v7
	v_sub_f32_e32 v7, v33, v37
	ds_write2_b32 v11, v14, v19 offset1:10
	v_add_f32_e32 v14, v38, v68
	v_fmac_f32_e32 v38, -0.5, v6
	v_sub_f32_e32 v6, v69, v101
	v_add_f32_e32 v8, v8, v24
	v_fmamk_f32 v18, v7, 0xbf5db3d7, v122
	v_fmac_f32_e32 v122, 0x3f5db3d7, v7
	v_add_f32_e32 v7, v14, v65
	v_fmamk_f32 v14, v6, 0xbf5db3d7, v38
	ds_write_b32 v11, v121 offset:80
	ds_write2_b32 v12, v8, v18 offset1:10
	ds_write_b32 v12, v122 offset:80
	v_add_f32_e32 v8, v23, v20
	v_add_f32_e32 v18, v26, v27
	v_fmac_f32_e32 v38, 0x3f5db3d7, v6
	ds_write2_b32 v13, v7, v14 offset1:10
	v_add_f32_e32 v7, v116, v23
	v_fmac_f32_e32 v116, -0.5, v8
	v_sub_f32_e32 v8, v25, v28
	v_add_f32_e32 v6, v31, v21
	v_sub_f32_e32 v2, v2, v5
	v_lshrrev_b16 v109, 12, v1
	v_add_f32_e32 v11, v10, v31
	v_fmamk_f32 v12, v8, 0xbf5db3d7, v116
	v_fmac_f32_e32 v116, 0x3f5db3d7, v8
	v_add_f32_e32 v8, v9, v26
	v_fmac_f32_e32 v9, -0.5, v18
	v_fmac_f32_e32 v10, -0.5, v6
	v_sub_f32_e32 v6, v35, v66
	v_sub_f32_e32 v1, v4, v118
	v_mov_b32_e32 v5, 0x8889
	v_fmamk_f32 v4, v2, 0xbf5db3d7, v9
	v_fmac_f32_e32 v9, 0x3f5db3d7, v2
	v_mul_lo_u16 v2, v109, 30
	v_fmamk_f32 v14, v6, 0xbf5db3d7, v10
	v_fmac_f32_e32 v10, 0x3f5db3d7, v6
	v_add_f32_e32 v6, v8, v27
	v_add_f32_e32 v8, v3, v117
	v_sub_nc_u16 v113, v76, v2
	v_mul_u32_u24_sdwa v2, v77, v5 dst_sel:DWORD dst_unused:UNUSED_PAD src0_sel:WORD_0 src1_sel:DWORD
	v_add_f32_e32 v3, v39, v3
	v_add_f32_e32 v7, v7, v20
	v_fmac_f32_e32 v39, -0.5, v8
	v_add_f32_e32 v11, v11, v21
	v_lshrrev_b32_e32 v107, 20, v2
	ds_write_b32 v13, v38 offset:80
	ds_write2_b32 v17, v7, v12 offset1:10
	ds_write_b32 v17, v116 offset:80
	ds_write2_b32 v32, v11, v14 offset1:10
	;; [unrolled: 2-line block ×3, first 2 shown]
	ds_write_b32 v16, v9 offset:80
	v_fmamk_f32 v8, v1, 0xbf5db3d7, v39
	v_fmac_f32_e32 v39, 0x3f5db3d7, v1
	v_mov_b32_e32 v1, 9
	v_mul_lo_u16 v4, v107, 30
	v_add_f32_e32 v3, v3, v117
	v_lshrrev_b16 v114, 12, v0
	ds_write_b32 v15, v39 offset:80
	v_mul_u32_u24_sdwa v2, v113, v1 dst_sel:DWORD dst_unused:UNUSED_PAD src0_sel:BYTE_0 src1_sel:DWORD
	v_sub_nc_u16 v108, v77, v4
	ds_write2_b32 v15, v3, v8 offset1:10
	s_waitcnt lgkmcnt(0)
	s_barrier
	v_lshlrev_b32_e32 v66, 3, v2
	v_mul_u32_u24_sdwa v2, v108, v1 dst_sel:DWORD dst_unused:UNUSED_PAD src0_sel:WORD_0 src1_sel:DWORD
	buffer_gl0_inv
	v_mul_lo_u16 v0, v114, 30
	global_load_dwordx4 v[116:119], v66, s[12:13] offset:160
	v_lshlrev_b32_e32 v68, 3, v2
	v_sub_nc_u16 v115, v75, v0
	global_load_dwordx4 v[123:126], v68, s[12:13] offset:160
	v_mul_u32_u24_sdwa v0, v115, v1 dst_sel:DWORD dst_unused:UNUSED_PAD src0_sel:BYTE_0 src1_sel:DWORD
	v_lshlrev_b32_e32 v64, 3, v0
	s_clause 0xc
	global_load_dwordx4 v[0:3], v64, s[12:13] offset:160
	global_load_dwordx4 v[4:7], v64, s[12:13] offset:176
	;; [unrolled: 1-line block ×10, first 2 shown]
	global_load_dwordx2 v[64:65], v64, s[12:13] offset:224
	global_load_dwordx2 v[66:67], v66, s[12:13] offset:224
	;; [unrolled: 1-line block ×3, first 2 shown]
	ds_read2_b32 v[127:128], v96 offset0:144 offset1:244
	ds_read2_b32 v[129:130], v97 offset0:60 offset1:160
	ds_read_b32 v121, v79
	ds_read_b32 v122, v80
	;; [unrolled: 1-line block ×3, first 2 shown]
	s_waitcnt vmcnt(14) lgkmcnt(4)
	v_mul_f32_e32 v70, v127, v117
	v_mul_f32_e32 v104, v73, v117
	s_waitcnt lgkmcnt(3)
	v_mul_f32_e32 v101, v129, v119
	v_mul_f32_e32 v105, v71, v119
	v_fma_f32 v103, v73, v116, -v70
	s_waitcnt vmcnt(13)
	v_mul_f32_e32 v70, v128, v124
	v_fmac_f32_e32 v104, v127, v116
	v_fma_f32 v106, v71, v118, -v101
	v_mul_f32_e32 v101, v74, v124
	v_mul_f32_e32 v116, v130, v126
	v_fma_f32 v73, v74, v123, -v70
	v_mul_f32_e32 v74, v72, v126
	ds_read2_b32 v[70:71], v84 offset0:48 offset1:148
	v_fmac_f32_e32 v105, v129, v118
	v_fmac_f32_e32 v101, v128, v123
	v_fma_f32 v72, v72, v125, -v116
	v_fmac_f32_e32 v74, v130, v125
	ds_read_b32 v117, v94
	ds_read_b32 v116, v95
	;; [unrolled: 1-line block ×3, first 2 shown]
	s_waitcnt vmcnt(12) lgkmcnt(6)
	v_mul_f32_e32 v126, v121, v1
	v_mul_f32_e32 v119, v112, v1
	ds_read2_b32 v[124:125], v89 offset0:104 offset1:204
	s_waitcnt lgkmcnt(6)
	v_mul_f32_e32 v1, v122, v3
	v_mul_f32_e32 v123, v111, v3
	v_fma_f32 v112, v112, v0, -v126
	v_fmac_f32_e32 v119, v121, v0
	s_waitcnt vmcnt(11) lgkmcnt(5)
	v_mul_f32_e32 v0, v120, v5
	v_fma_f32 v121, v111, v2, -v1
	v_fmac_f32_e32 v123, v122, v2
	ds_read2_b32 v[2:3], v91 offset0:120 offset1:220
	v_mul_f32_e32 v122, v110, v5
	v_mul_f32_e32 v111, v62, v7
	v_fma_f32 v126, v110, v4, -v0
	s_waitcnt lgkmcnt(5)
	v_mul_f32_e32 v1, v70, v7
	s_waitcnt vmcnt(10)
	v_mul_f32_e32 v0, v71, v11
	v_fmac_f32_e32 v122, v120, v4
	ds_read2_b32 v[4:5], v87 offset0:8 offset1:108
	v_mul_f32_e32 v120, v60, v9
	v_fma_f32 v110, v62, v6, -v1
	v_mul_f32_e32 v62, v63, v11
	v_fmac_f32_e32 v111, v70, v6
	s_waitcnt lgkmcnt(2)
	v_mul_f32_e32 v1, v124, v9
	v_fma_f32 v63, v63, v10, -v0
	v_fmac_f32_e32 v120, v124, v8
	v_fmac_f32_e32 v62, v71, v10
	ds_read2_b32 v[6:7], v92 offset0:64 offset1:164
	v_fma_f32 v71, v60, v8, -v1
	s_waitcnt vmcnt(9)
	v_mul_f32_e32 v1, v125, v13
	v_mul_f32_e32 v0, v58, v15
	s_waitcnt lgkmcnt(2)
	v_mul_f32_e32 v8, v2, v15
	v_mul_f32_e32 v70, v61, v13
	s_waitcnt vmcnt(8)
	v_mul_f32_e32 v9, v3, v17
	v_fma_f32 v61, v61, v12, -v1
	v_fmac_f32_e32 v0, v2, v14
	v_fma_f32 v1, v58, v14, -v8
	ds_read2_b32 v[13:14], v86 offset0:96 offset1:196
	v_fmac_f32_e32 v70, v125, v12
	v_mul_f32_e32 v8, v59, v17
	ds_read2_b32 v[11:12], v90 offset0:80 offset1:180
	v_fma_f32 v124, v59, v16, -v9
	v_mul_f32_e32 v59, v56, v19
	s_waitcnt vmcnt(7)
	v_mul_f32_e32 v58, v57, v23
	v_fmac_f32_e32 v8, v3, v16
	s_waitcnt lgkmcnt(3)
	v_mul_f32_e32 v3, v5, v23
	v_mul_f32_e32 v2, v4, v19
	v_fmac_f32_e32 v59, v4, v18
	v_fmac_f32_e32 v58, v5, v22
	ds_read2_b32 v[4:5], v85 offset0:152 offset1:252
	v_fma_f32 v57, v57, v22, -v3
	s_waitcnt lgkmcnt(3)
	v_mul_f32_e32 v3, v6, v21
	v_mul_f32_e32 v22, v54, v21
	ds_read2_b32 v[15:16], v93 offset0:40 offset1:140
	v_fma_f32 v9, v56, v18, -v2
	s_waitcnt vmcnt(6)
	v_mul_f32_e32 v10, v7, v25
	v_fma_f32 v19, v54, v20, -v3
	v_mul_f32_e32 v3, v52, v27
	s_waitcnt vmcnt(5) lgkmcnt(3)
	v_mul_f32_e32 v17, v13, v31
	v_mul_f32_e32 v2, v55, v25
	v_fmac_f32_e32 v22, v6, v20
	s_waitcnt lgkmcnt(2)
	v_mul_f32_e32 v6, v11, v27
	v_fmac_f32_e32 v3, v11, v26
	v_fma_f32 v11, v48, v30, -v17
	ds_read2_b32 v[17:18], v88 offset0:112 offset1:212
	v_fma_f32 v20, v55, v24, -v10
	v_fmac_f32_e32 v2, v7, v24
	v_mul_f32_e32 v7, v12, v29
	v_mul_f32_e32 v10, v53, v29
	v_fma_f32 v6, v52, v26, -v6
	v_mul_f32_e32 v60, v48, v31
	s_waitcnt vmcnt(4)
	v_mul_f32_e32 v52, v49, v35
	v_fma_f32 v23, v53, v28, -v7
	v_fmac_f32_e32 v10, v12, v28
	v_mul_f32_e32 v7, v14, v35
	s_waitcnt lgkmcnt(2)
	v_mul_f32_e32 v12, v4, v33
	v_mul_f32_e32 v48, v50, v33
	v_fmac_f32_e32 v60, v13, v30
	v_fmac_f32_e32 v52, v14, v34
	v_fma_f32 v49, v49, v34, -v7
	v_fma_f32 v24, v50, v32, -v12
	v_fmac_f32_e32 v48, v4, v32
	s_waitcnt vmcnt(3)
	v_mul_f32_e32 v12, v5, v37
	v_mul_f32_e32 v4, v51, v37
	s_waitcnt lgkmcnt(1)
	v_mul_f32_e32 v13, v15, v39
	v_mul_f32_e32 v7, v44, v39
	s_waitcnt vmcnt(2)
	v_mul_f32_e32 v14, v16, v65
	v_fma_f32 v25, v51, v36, -v12
	v_fmac_f32_e32 v4, v5, v36
	v_fma_f32 v21, v44, v38, -v13
	v_fmac_f32_e32 v7, v15, v38
	v_fma_f32 v15, v45, v64, -v14
	v_mul_f32_e32 v12, v45, v65
	s_waitcnt vmcnt(1) lgkmcnt(0)
	v_mul_f32_e32 v13, v17, v67
	v_mul_f32_e32 v36, v46, v67
	s_waitcnt vmcnt(0)
	v_mul_f32_e32 v14, v18, v69
	v_mul_f32_e32 v5, v47, v69
	v_add_f32_e32 v33, v112, v126
	v_fmac_f32_e32 v12, v16, v64
	v_fma_f32 v16, v46, v66, -v13
	v_fmac_f32_e32 v36, v17, v66
	v_fma_f32 v17, v47, v68, -v14
	v_fmac_f32_e32 v5, v18, v68
	v_sub_f32_e32 v13, v121, v110
	v_sub_f32_e32 v14, v11, v9
	v_mov_b32_e32 v18, 0x4b0
	v_add_f32_e32 v33, v33, v124
	v_sub_f32_e32 v26, v126, v124
	v_sub_f32_e32 v27, v15, v23
	;; [unrolled: 1-line block ×4, first 2 shown]
	v_mul_u32_u24_sdwa v30, v114, v18 dst_sel:DWORD dst_unused:UNUSED_PAD src0_sel:WORD_0 src1_sel:DWORD
	v_lshlrev_b32_sdwa v31, v98, v115 dst_sel:DWORD dst_unused:UNUSED_PAD src0_sel:DWORD src1_sel:BYTE_0
	v_add_f32_e32 v32, v13, v14
	v_add_f32_e32 v13, v110, v9
	;; [unrolled: 1-line block ×7, first 2 shown]
	v_add3_u32 v37, 0, v30, v31
	v_add_f32_e32 v28, v102, v121
	v_add_f32_e32 v29, v124, v23
	v_fma_f32 v30, -0.5, v13, v102
	v_sub_f32_e32 v31, v126, v15
	v_sub_f32_e32 v35, v124, v23
	v_add_f32_e32 v33, v33, v15
	v_fmac_f32_e32 v102, -0.5, v45
	v_sub_f32_e32 v45, v110, v121
	v_sub_f32_e32 v46, v9, v11
	v_add_f32_e32 v54, v126, v15
	v_sub_f32_e32 v15, v23, v15
	v_add_f32_e32 v23, v122, v12
	v_fma_f32 v39, -0.5, v14, v119
	v_fma_f32 v38, -0.5, v29, v112
	v_sub_f32_e32 v44, v8, v10
	v_add_f32_e32 v56, v45, v46
	v_fmac_f32_e32 v112, -0.5, v54
	v_sub_f32_e32 v46, v124, v126
	v_add_f32_e32 v54, v119, v122
	v_fmac_f32_e32 v119, -0.5, v23
	v_sub_f32_e32 v29, v122, v12
	v_fmamk_f32 v13, v31, 0xbf737871, v39
	v_fmamk_f32 v45, v44, 0xbf737871, v112
	v_add_f32_e32 v15, v46, v15
	v_fmac_f32_e32 v112, 0x3f737871, v44
	v_sub_f32_e32 v23, v8, v122
	v_sub_f32_e32 v64, v10, v12
	v_fmamk_f32 v46, v35, 0x3f737871, v119
	v_fmamk_f32 v14, v29, 0x3f737871, v38
	v_fmac_f32_e32 v38, 0xbf737871, v29
	v_sub_f32_e32 v34, v123, v60
	v_fmac_f32_e32 v13, 0xbf167918, v35
	v_sub_f32_e32 v50, v111, v59
	v_fmac_f32_e32 v112, 0xbf167918, v29
	v_fmac_f32_e32 v119, 0xbf737871, v35
	v_add_f32_e32 v23, v23, v64
	v_fmac_f32_e32 v46, 0xbf167918, v31
	v_fmac_f32_e32 v39, 0x3f737871, v31
	;; [unrolled: 1-line block ×3, first 2 shown]
	v_add_f32_e32 v28, v28, v110
	v_fmamk_f32 v47, v34, 0x3f737871, v30
	v_fmac_f32_e32 v14, 0x3f167918, v44
	v_fmac_f32_e32 v13, 0x3e9e377a, v27
	v_fmamk_f32 v53, v50, 0xbf737871, v102
	v_fmac_f32_e32 v102, 0x3f737871, v50
	v_fmac_f32_e32 v45, 0x3f167918, v29
	;; [unrolled: 1-line block ×8, first 2 shown]
	v_add_f32_e32 v28, v28, v9
	v_fmac_f32_e32 v47, 0x3f167918, v50
	v_fmac_f32_e32 v14, 0x3e9e377a, v26
	v_mul_f32_e32 v51, 0x3f167918, v13
	v_fmac_f32_e32 v53, 0x3f167918, v34
	v_fmac_f32_e32 v102, 0xbf167918, v34
	;; [unrolled: 1-line block ×4, first 2 shown]
	v_mul_f32_e32 v15, 0x3f737871, v46
	v_mul_f32_e32 v23, 0x3e9e377a, v112
	v_fmac_f32_e32 v30, 0xbf167918, v50
	v_fmac_f32_e32 v39, 0x3e9e377a, v27
	v_mul_f32_e32 v26, 0x3f4f1bbd, v38
	v_add_f32_e32 v28, v28, v11
	v_fmac_f32_e32 v47, 0x3e9e377a, v32
	v_fmac_f32_e32 v51, 0x3f4f1bbd, v14
	v_fmac_f32_e32 v53, 0x3e9e377a, v56
	v_fmac_f32_e32 v102, 0x3e9e377a, v56
	v_fmac_f32_e32 v15, 0x3e9e377a, v45
	v_fma_f32 v23, 0x3f737871, v119, -v23
	v_fmac_f32_e32 v30, 0x3e9e377a, v32
	v_fma_f32 v26, 0x3f167918, v39, -v26
	v_add_f32_e32 v55, v28, v33
	v_add_f32_e32 v27, v47, v51
	;; [unrolled: 1-line block ×4, first 2 shown]
	v_sub_f32_e32 v28, v28, v33
	v_add_f32_e32 v32, v30, v26
	s_barrier
	buffer_gl0_inv
	ds_write2_b32 v37, v55, v27 offset1:30
	ds_write2_b32 v37, v29, v31 offset0:60 offset1:90
	ds_write2_b32 v37, v32, v28 offset0:120 offset1:150
	v_sub_f32_e32 v28, v106, v63
	v_sub_f32_e32 v29, v49, v57
	v_sub_f32_e32 v31, v71, v19
	v_sub_f32_e32 v32, v16, v24
	v_sub_f32_e32 v26, v30, v26
	v_sub_f32_e32 v30, v120, v22
	v_add_f32_e32 v28, v28, v29
	v_mul_u32_u24_sdwa v18, v109, v18 dst_sel:DWORD dst_unused:UNUSED_PAD src0_sel:WORD_0 src1_sel:DWORD
	v_add_f32_e32 v29, v31, v32
	v_sub_f32_e32 v32, v36, v48
	v_lshlrev_b32_sdwa v33, v98, v113 dst_sel:DWORD dst_unused:UNUSED_PAD src0_sel:DWORD src1_sel:BYTE_0
	v_add_f32_e32 v50, v22, v48
	v_sub_f32_e32 v15, v53, v15
	v_add_f32_e32 v31, v63, v57
	v_add_f32_e32 v30, v30, v32
	;; [unrolled: 1-line block ×3, first 2 shown]
	v_add3_u32 v44, 0, v18, v33
	v_add_f32_e32 v18, v19, v24
	v_sub_f32_e32 v33, v71, v16
	v_sub_f32_e32 v53, v19, v24
	v_add_f32_e32 v32, v32, v19
	v_add_f32_e32 v67, v106, v49
	;; [unrolled: 1-line block ×3, first 2 shown]
	v_fma_f32 v50, -0.5, v50, v104
	v_add_f32_e32 v34, v100, v106
	v_add_f32_e32 v32, v32, v24
	v_fma_f32 v31, -0.5, v31, v100
	v_fma_f32 v64, -0.5, v18, v103
	v_sub_f32_e32 v56, v22, v48
	v_fmac_f32_e32 v100, -0.5, v67
	v_add_f32_e32 v32, v32, v16
	v_sub_f32_e32 v16, v24, v16
	v_add_f32_e32 v24, v120, v36
	v_sub_f32_e32 v67, v63, v106
	v_sub_f32_e32 v69, v57, v49
	v_fmac_f32_e32 v103, -0.5, v109
	v_sub_f32_e32 v19, v19, v71
	v_add_f32_e32 v71, v104, v120
	v_fmac_f32_e32 v104, -0.5, v24
	v_sub_f32_e32 v18, v120, v36
	v_fmamk_f32 v65, v33, 0xbf737871, v50
	v_add_f32_e32 v67, v67, v69
	v_fmamk_f32 v69, v56, 0xbf737871, v103
	v_add_f32_e32 v16, v19, v16
	v_fmac_f32_e32 v103, 0x3f737871, v56
	v_sub_f32_e32 v19, v22, v120
	v_sub_f32_e32 v24, v48, v36
	v_fmamk_f32 v109, v53, 0x3f737871, v104
	v_fmamk_f32 v66, v18, 0x3f737871, v64
	v_fmac_f32_e32 v64, 0xbf737871, v18
	v_sub_f32_e32 v35, v105, v52
	v_fmac_f32_e32 v65, 0xbf167918, v53
	v_sub_f32_e32 v55, v62, v58
	v_fmac_f32_e32 v103, 0xbf167918, v18
	v_fmac_f32_e32 v104, 0xbf737871, v53
	v_add_f32_e32 v19, v19, v24
	v_fmac_f32_e32 v109, 0xbf167918, v33
	v_fmac_f32_e32 v50, 0x3f737871, v33
	v_fmac_f32_e32 v64, 0xbf167918, v56
	v_sub_f32_e32 v27, v47, v51
	v_add_f32_e32 v34, v34, v63
	v_fmamk_f32 v51, v35, 0x3f737871, v31
	v_fmac_f32_e32 v66, 0x3f167918, v56
	v_fmac_f32_e32 v65, 0x3e9e377a, v30
	v_sub_f32_e32 v23, v102, v23
	v_fmamk_f32 v102, v55, 0xbf737871, v100
	v_fmac_f32_e32 v100, 0x3f737871, v55
	v_fmac_f32_e32 v69, 0x3f167918, v18
	;; [unrolled: 1-line block ×8, first 2 shown]
	v_add_f32_e32 v34, v34, v57
	v_fmac_f32_e32 v51, 0x3f167918, v55
	v_fmac_f32_e32 v66, 0x3e9e377a, v29
	v_mul_f32_e32 v68, 0x3f167918, v65
	v_fmac_f32_e32 v102, 0x3f167918, v35
	v_fmac_f32_e32 v100, 0xbf167918, v35
	;; [unrolled: 1-line block ×4, first 2 shown]
	v_mul_f32_e32 v16, 0x3f737871, v109
	v_mul_f32_e32 v18, 0x3e9e377a, v103
	v_fmac_f32_e32 v31, 0xbf167918, v55
	v_fmac_f32_e32 v50, 0x3e9e377a, v30
	v_mul_f32_e32 v19, 0x3f4f1bbd, v64
	v_add_f32_e32 v34, v34, v49
	v_fmac_f32_e32 v51, 0x3e9e377a, v28
	v_fmac_f32_e32 v68, 0x3f4f1bbd, v66
	;; [unrolled: 1-line block ×5, first 2 shown]
	v_fma_f32 v18, 0x3f737871, v104, -v18
	v_fmac_f32_e32 v31, 0x3e9e377a, v28
	v_fma_f32 v19, 0x3f167918, v50, -v19
	v_add_nc_u32_e32 v47, 0x200, v37
	v_add_f32_e32 v113, v34, v32
	v_add_f32_e32 v24, v51, v68
	;; [unrolled: 1-line block ×4, first 2 shown]
	v_sub_f32_e32 v30, v34, v32
	v_add_f32_e32 v32, v31, v19
	ds_write2_b32 v37, v27, v15 offset0:180 offset1:210
	ds_write2_b32 v47, v23, v26 offset0:112 offset1:142
	ds_write2_b32 v44, v113, v24 offset1:30
	ds_write2_b32 v44, v28, v29 offset0:60 offset1:90
	ds_write2_b32 v44, v32, v30 offset0:120 offset1:150
	v_sub_f32_e32 v15, v51, v68
	v_sub_f32_e32 v16, v102, v16
	;; [unrolled: 1-line block ×6, first 2 shown]
	ds_write2_b32 v44, v15, v16 offset0:180 offset1:210
	v_add_f32_e32 v53, v72, v21
	v_add_f32_e32 v15, v23, v24
	v_sub_f32_e32 v23, v70, v2
	v_add_f32_e32 v16, v26, v27
	v_sub_f32_e32 v26, v5, v4
	v_add_f32_e32 v24, v1, v6
	v_lshlrev_b32_sdwa v27, v98, v108 dst_sel:DWORD dst_unused:UNUSED_PAD src0_sel:DWORD src1_sel:WORD_0
	v_mul_u32_u24_e32 v28, 0x4b0, v107
	v_add_f32_e32 v29, v2, v4
	v_add_f32_e32 v23, v23, v26
	;; [unrolled: 1-line block ×4, first 2 shown]
	v_fma_f32 v24, -0.5, v24, v99
	v_add_f32_e32 v32, v20, v25
	v_fmac_f32_e32 v99, -0.5, v53
	v_add_f32_e32 v26, v26, v20
	v_add_f32_e32 v53, v61, v17
	v_sub_f32_e32 v18, v100, v18
	v_fma_f32 v67, -0.5, v29, v101
	v_sub_f32_e32 v29, v61, v17
	v_add_f32_e32 v26, v26, v25
	v_fma_f32 v68, -0.5, v32, v73
	v_sub_f32_e32 v33, v20, v25
	v_add3_u32 v100, 0, v28, v27
	v_sub_f32_e32 v28, v2, v4
	v_add_f32_e32 v26, v26, v17
	v_fmac_f32_e32 v73, -0.5, v53
	v_sub_f32_e32 v17, v25, v17
	v_add_f32_e32 v25, v70, v5
	v_sub_f32_e32 v32, v70, v5
	v_sub_f32_e32 v20, v20, v61
	v_fmamk_f32 v61, v28, 0xbf737871, v73
	v_fmac_f32_e32 v73, 0x3f737871, v28
	v_add_f32_e32 v113, v101, v70
	v_fmac_f32_e32 v101, -0.5, v25
	v_fmamk_f32 v98, v29, 0xbf737871, v67
	v_add_f32_e32 v17, v20, v17
	v_fmac_f32_e32 v61, 0x3f167918, v32
	v_fmac_f32_e32 v73, 0xbf167918, v32
	v_sub_f32_e32 v20, v2, v70
	v_sub_f32_e32 v25, v4, v5
	v_fmamk_f32 v70, v33, 0x3f737871, v101
	v_fmamk_f32 v102, v32, 0x3f737871, v68
	v_fmac_f32_e32 v68, 0xbf737871, v32
	v_sub_f32_e32 v19, v31, v19
	v_sub_f32_e32 v31, v74, v7
	v_fmac_f32_e32 v98, 0xbf167918, v33
	v_sub_f32_e32 v34, v0, v3
	v_sub_f32_e32 v55, v1, v72
	;; [unrolled: 1-line block ×3, first 2 shown]
	v_fmac_f32_e32 v61, 0x3e9e377a, v17
	v_fmac_f32_e32 v73, 0x3e9e377a, v17
	v_add_f32_e32 v17, v20, v25
	v_fmac_f32_e32 v101, 0xbf737871, v33
	v_fmac_f32_e32 v70, 0xbf167918, v29
	v_fmac_f32_e32 v67, 0x3f737871, v29
	v_fmac_f32_e32 v68, 0xbf167918, v28
	v_add_f32_e32 v27, v30, v1
	v_fmamk_f32 v30, v31, 0x3f737871, v24
	v_fmac_f32_e32 v102, 0x3f167918, v28
	v_fmac_f32_e32 v98, 0x3e9e377a, v23
	v_add_f32_e32 v55, v55, v56
	v_fmamk_f32 v56, v34, 0xbf737871, v99
	v_fmac_f32_e32 v99, 0x3f737871, v34
	v_fmac_f32_e32 v24, 0xbf737871, v31
	;; [unrolled: 1-line block ×6, first 2 shown]
	v_add_f32_e32 v27, v27, v6
	v_fmac_f32_e32 v30, 0x3f167918, v34
	v_fmac_f32_e32 v102, 0x3e9e377a, v16
	v_mul_f32_e32 v35, 0x3f167918, v98
	v_fmac_f32_e32 v56, 0x3f167918, v31
	v_fmac_f32_e32 v99, 0xbf167918, v31
	;; [unrolled: 1-line block ×4, first 2 shown]
	v_mul_f32_e32 v16, 0x3f737871, v70
	v_mul_f32_e32 v17, 0x3e9e377a, v73
	v_fmac_f32_e32 v67, 0x3e9e377a, v23
	v_mul_f32_e32 v20, 0x3f4f1bbd, v68
	v_add_f32_e32 v27, v27, v21
	v_fmac_f32_e32 v30, 0x3e9e377a, v15
	v_fmac_f32_e32 v35, 0x3f4f1bbd, v102
	;; [unrolled: 1-line block ×6, first 2 shown]
	v_fma_f32 v15, 0x3f737871, v101, -v17
	v_fma_f32 v17, 0x3f167918, v67, -v20
	v_add_nc_u32_e32 v51, 0x200, v44
	v_add_f32_e32 v107, v27, v26
	v_add_f32_e32 v108, v30, v35
	v_sub_f32_e32 v20, v27, v26
	v_add_f32_e32 v23, v56, v16
	v_add_f32_e32 v26, v99, v15
	;; [unrolled: 1-line block ×3, first 2 shown]
	v_sub_f32_e32 v25, v30, v35
	v_sub_f32_e32 v16, v56, v16
	ds_write2_b32 v51, v18, v19 offset0:112 offset1:142
	ds_write2_b32 v100, v107, v108 offset1:30
	ds_write2_b32 v100, v23, v26 offset0:60 offset1:90
	ds_write2_b32 v100, v27, v20 offset0:120 offset1:150
	;; [unrolled: 1-line block ×3, first 2 shown]
	v_sub_f32_e32 v107, v121, v11
	v_add_f32_e32 v11, v118, v123
	v_sub_f32_e32 v16, v24, v17
	v_add_f32_e32 v17, v111, v59
	v_add_f32_e32 v8, v54, v8
	v_sub_f32_e32 v110, v110, v9
	v_add_f32_e32 v9, v11, v111
	v_add_f32_e32 v23, v123, v60
	v_fma_f32 v108, -0.5, v17, v118
	v_sub_f32_e32 v15, v99, v15
	v_add_nc_u32_e32 v99, 0x200, v100
	v_sub_f32_e32 v17, v123, v111
	v_sub_f32_e32 v18, v60, v59
	v_add_f32_e32 v8, v8, v10
	v_mul_f32_e32 v120, 0xbf167918, v14
	v_add_f32_e32 v9, v9, v59
	v_fmac_f32_e32 v118, -0.5, v23
	v_fmamk_f32 v114, v107, 0xbf737871, v108
	v_add_f32_e32 v115, v17, v18
	ds_write2_b32 v99, v15, v16 offset0:112 offset1:142
	v_add_f32_e32 v121, v8, v12
	v_fmac_f32_e32 v120, 0x3f4f1bbd, v13
	v_add_f32_e32 v122, v9, v60
	s_waitcnt lgkmcnt(0)
	s_barrier
	buffer_gl0_inv
	ds_read_b32 v20, v95
	ds_read_b32 v53, v78
	;; [unrolled: 1-line block ×6, first 2 shown]
	ds_read2_b32 v[14:15], v84 offset0:48 offset1:148
	ds_read2_b32 v[12:13], v91 offset0:120 offset1:220
	;; [unrolled: 1-line block ×7, first 2 shown]
	v_sub_f32_e32 v94, v111, v123
	v_sub_f32_e32 v59, v59, v60
	v_fmamk_f32 v60, v110, 0x3f737871, v118
	v_fmac_f32_e32 v118, 0xbf737871, v110
	v_fmac_f32_e32 v114, 0xbf167918, v110
	;; [unrolled: 1-line block ×3, first 2 shown]
	v_add_f32_e32 v59, v94, v59
	v_fmac_f32_e32 v60, 0xbf167918, v107
	v_fmac_f32_e32 v118, 0x3f167918, v107
	v_mul_f32_e32 v45, 0xbf737871, v45
	v_mul_f32_e32 v107, 0x3e9e377a, v119
	v_fmac_f32_e32 v114, 0x3e9e377a, v115
	v_fmac_f32_e32 v108, 0x3f167918, v110
	v_mul_f32_e32 v39, 0x3f4f1bbd, v39
	v_fmac_f32_e32 v60, 0x3e9e377a, v59
	v_fmac_f32_e32 v118, 0x3e9e377a, v59
	;; [unrolled: 1-line block ×3, first 2 shown]
	v_fma_f32 v46, 0xbf737871, v112, -v107
	v_add_f32_e32 v94, v122, v121
	v_add_f32_e32 v95, v114, v120
	v_fmac_f32_e32 v108, 0x3e9e377a, v115
	v_fma_f32 v38, 0xbf167918, v38, -v39
	v_add_f32_e32 v39, v60, v45
	v_add_f32_e32 v59, v118, v46
	ds_read2_b32 v[33:34], v97 offset0:60 offset1:160
	ds_read2_b32 v[31:32], v89 offset0:104 offset1:204
	;; [unrolled: 1-line block ×5, first 2 shown]
	s_waitcnt lgkmcnt(0)
	s_barrier
	buffer_gl0_inv
	ds_write2_b32 v37, v94, v95 offset1:30
	v_sub_f32_e32 v94, v122, v121
	v_add_f32_e32 v95, v108, v38
	v_sub_f32_e32 v107, v114, v120
	v_sub_f32_e32 v45, v60, v45
	ds_write2_b32 v37, v39, v59 offset0:60 offset1:90
	ds_write2_b32 v37, v95, v94 offset0:120 offset1:150
	v_add_f32_e32 v39, v117, v105
	v_sub_f32_e32 v46, v118, v46
	v_sub_f32_e32 v38, v108, v38
	ds_write2_b32 v37, v107, v45 offset0:180 offset1:210
	ds_write2_b32 v47, v46, v38 offset0:112 offset1:142
	v_sub_f32_e32 v38, v105, v62
	v_add_f32_e32 v39, v39, v62
	v_sub_f32_e32 v45, v52, v58
	v_add_f32_e32 v46, v62, v58
	v_add_f32_e32 v47, v105, v52
	v_sub_f32_e32 v37, v106, v49
	v_sub_f32_e32 v49, v63, v57
	v_add_f32_e32 v39, v39, v58
	v_add_f32_e32 v38, v38, v45
	v_fma_f32 v45, -0.5, v46, v117
	v_fmac_f32_e32 v117, -0.5, v47
	v_sub_f32_e32 v46, v62, v105
	v_add_f32_e32 v39, v39, v52
	v_sub_f32_e32 v47, v58, v52
	v_fmamk_f32 v52, v37, 0xbf737871, v45
	v_fmac_f32_e32 v45, 0x3f737871, v37
	v_fmamk_f32 v57, v49, 0x3f737871, v117
	v_fmac_f32_e32 v117, 0xbf737871, v49
	v_add_f32_e32 v22, v71, v22
	v_fmac_f32_e32 v52, 0xbf167918, v49
	v_fmac_f32_e32 v45, 0x3f167918, v49
	v_add_f32_e32 v46, v46, v47
	v_fmac_f32_e32 v57, 0xbf167918, v37
	;; [unrolled: 3-line block ×3, first 2 shown]
	v_fmac_f32_e32 v45, 0x3e9e377a, v38
	v_fmac_f32_e32 v57, 0x3e9e377a, v46
	;; [unrolled: 1-line block ×3, first 2 shown]
	v_mul_f32_e32 v37, 0xbf167918, v66
	v_mul_f32_e32 v38, 0xbf737871, v69
	;; [unrolled: 1-line block ×4, first 2 shown]
	v_add_f32_e32 v50, v116, v74
	v_add_f32_e32 v22, v22, v36
	v_fmac_f32_e32 v37, 0x3f4f1bbd, v65
	v_fmac_f32_e32 v38, 0x3e9e377a, v109
	v_fma_f32 v36, 0xbf737871, v103, -v46
	v_fma_f32 v46, 0xbf167918, v64, -v47
	v_add_f32_e32 v50, v50, v0
	v_add_f32_e32 v58, v0, v3
	;; [unrolled: 1-line block ×4, first 2 shown]
	v_sub_f32_e32 v22, v39, v22
	v_add_f32_e32 v39, v52, v37
	v_sub_f32_e32 v37, v52, v37
	v_add_f32_e32 v48, v57, v38
	v_sub_f32_e32 v38, v57, v38
	v_add_f32_e32 v52, v45, v46
	v_sub_f32_e32 v45, v45, v46
	v_sub_f32_e32 v46, v74, v0
	;; [unrolled: 1-line block ×4, first 2 shown]
	v_add_f32_e32 v6, v50, v3
	v_fma_f32 v50, -0.5, v58, v116
	v_fmac_f32_e32 v116, -0.5, v59
	v_sub_f32_e32 v21, v72, v21
	v_add_f32_e32 v46, v46, v57
	v_sub_f32_e32 v0, v0, v74
	v_sub_f32_e32 v3, v3, v7
	v_fmamk_f32 v57, v1, 0x3f737871, v116
	v_fmac_f32_e32 v116, 0xbf737871, v1
	v_add_f32_e32 v6, v6, v7
	v_fmamk_f32 v7, v21, 0xbf737871, v50
	v_fmac_f32_e32 v50, 0x3f737871, v21
	v_add_f32_e32 v2, v113, v2
	v_add_f32_e32 v0, v0, v3
	v_fmac_f32_e32 v57, 0xbf167918, v21
	v_fmac_f32_e32 v116, 0x3f167918, v21
	;; [unrolled: 1-line block ×4, first 2 shown]
	v_add_f32_e32 v1, v2, v4
	v_fmac_f32_e32 v57, 0x3e9e377a, v0
	v_fmac_f32_e32 v116, 0x3e9e377a, v0
	v_mul_f32_e32 v0, 0xbf167918, v102
	v_mul_f32_e32 v2, 0xbf737871, v61
	;; [unrolled: 1-line block ×4, first 2 shown]
	v_fmac_f32_e32 v7, 0x3e9e377a, v46
	v_fmac_f32_e32 v50, 0x3e9e377a, v46
	v_add_f32_e32 v1, v1, v5
	v_fmac_f32_e32 v0, 0x3f4f1bbd, v98
	v_fmac_f32_e32 v2, 0x3e9e377a, v70
	v_fma_f32 v3, 0xbf737871, v73, -v3
	v_fma_f32 v4, 0xbf167918, v68, -v4
	v_add_f32_e32 v49, v117, v36
	v_sub_f32_e32 v36, v117, v36
	v_add_f32_e32 v5, v6, v1
	v_sub_f32_e32 v1, v6, v1
	v_add_f32_e32 v6, v7, v0
	v_sub_f32_e32 v0, v7, v0
	v_add_f32_e32 v7, v57, v2
	v_sub_f32_e32 v2, v57, v2
	v_add_f32_e32 v21, v116, v3
	v_sub_f32_e32 v3, v116, v3
	v_add_f32_e32 v46, v50, v4
	v_sub_f32_e32 v4, v50, v4
	ds_write2_b32 v44, v47, v39 offset1:30
	ds_write2_b32 v44, v48, v49 offset0:60 offset1:90
	ds_write2_b32 v44, v52, v22 offset0:120 offset1:150
	ds_write2_b32 v44, v37, v38 offset0:180 offset1:210
	ds_write2_b32 v51, v36, v45 offset0:112 offset1:142
	ds_write2_b32 v100, v5, v6 offset1:30
	ds_write2_b32 v100, v7, v21 offset0:60 offset1:90
	ds_write2_b32 v100, v46, v1 offset0:120 offset1:150
	;; [unrolled: 1-line block ×4, first 2 shown]
	s_waitcnt lgkmcnt(0)
	s_barrier
	buffer_gl0_inv
	s_and_saveexec_b32 s4, vcc_lo
	s_cbranch_execz .LBB0_15
; %bb.14:
	v_mul_i32_i24_e32 v21, 9, v77
	v_mov_b32_e32 v22, 0
	v_mul_i32_i24_e32 v48, 0xffffffdc, v76
	v_mul_i32_i24_e32 v94, 0xffffffdc, v77
	v_mul_lo_u32 v118, s1, v42
	v_mul_lo_u32 v119, s0, v43
	v_lshlrev_b64 v[0:1], 3, v[21:22]
	v_mul_i32_i24_e32 v21, 9, v76
	v_add_nc_u32_e32 v83, v83, v94
	v_add_nc_u32_e32 v48, v82, v48
	v_lshlrev_b64 v[21:22], 3, v[21:22]
	v_add_co_u32 v38, vcc_lo, s12, v0
	v_add_co_ci_u32_e32 v39, vcc_lo, s13, v1, vcc_lo
	v_add_co_u32 v36, vcc_lo, 0x910, v38
	v_add_co_ci_u32_e32 v37, vcc_lo, 0, v39, vcc_lo
	s_clause 0x2
	global_load_dwordx4 v[4:7], v[36:37], off offset:16
	global_load_dwordx4 v[0:3], v[36:37], off offset:32
	;; [unrolled: 1-line block ×3, first 2 shown]
	v_add_co_u32 v36, vcc_lo, 0x800, v38
	v_add_co_ci_u32_e32 v37, vcc_lo, 0, v39, vcc_lo
	v_add_co_u32 v38, vcc_lo, s12, v21
	v_add_co_ci_u32_e32 v39, vcc_lo, s13, v22, vcc_lo
	s_clause 0x1
	global_load_dwordx2 v[73:74], v[36:37], off offset:336
	global_load_dwordx4 v[57:60], v[36:37], off offset:272
	v_add_co_u32 v21, vcc_lo, 0x800, v38
	v_add_co_ci_u32_e32 v22, vcc_lo, 0, v39, vcc_lo
	v_add_co_u32 v36, vcc_lo, 0x910, v38
	v_add_co_ci_u32_e32 v37, vcc_lo, 0, v39, vcc_lo
	s_clause 0x4
	global_load_dwordx4 v[61:64], v[21:22], off offset:272
	global_load_dwordx4 v[65:68], v[36:37], off offset:16
	;; [unrolled: 1-line block ×4, first 2 shown]
	global_load_dwordx2 v[36:37], v[21:22], off offset:336
	v_mad_u64_u32 v[21:22], null, s0, v42, 0
	ds_read2_b32 v[42:43], v97 offset0:60 offset1:160
	ds_read2_b32 v[49:50], v91 offset0:120 offset1:220
	;; [unrolled: 1-line block ×6, first 2 shown]
	v_mul_u32_u24_e32 v89, 9, v75
	ds_read2_b32 v[104:105], v88 offset0:112 offset1:212
	ds_read2_b32 v[106:107], v85 offset0:152 offset1:252
	;; [unrolled: 1-line block ×6, first 2 shown]
	v_lshlrev_b32_e32 v84, 3, v89
	v_add3_u32 v22, v22, v119, v118
	ds_read_b32 v118, v83
	ds_read_b32 v48, v48
	v_add_co_u32 v84, s0, s12, v84
	v_add_co_ci_u32_e64 v85, null, s13, 0, s0
	v_lshlrev_b64 v[21:22], 3, v[21:22]
	v_add_co_u32 v116, vcc_lo, 0x800, v84
	v_add_co_ci_u32_e32 v117, vcc_lo, 0, v85, vcc_lo
	v_add_co_u32 v94, vcc_lo, 0x910, v84
	v_add_co_ci_u32_e32 v95, vcc_lo, 0, v85, vcc_lo
	s_clause 0x3
	global_load_dwordx4 v[82:85], v[116:117], off offset:272
	global_load_dwordx4 v[86:89], v[94:95], off offset:48
	;; [unrolled: 1-line block ×4, first 2 shown]
	s_waitcnt vmcnt(13) lgkmcnt(12)
	v_mul_f32_e32 v119, v6, v49
	s_waitcnt lgkmcnt(9)
	v_mul_f32_e32 v120, v5, v77
	v_mul_f32_e32 v77, v4, v77
	;; [unrolled: 1-line block ×3, first 2 shown]
	s_waitcnt vmcnt(12)
	v_mul_f32_e32 v121, v2, v38
	v_fmac_f32_e32 v119, v12, v7
	s_waitcnt lgkmcnt(8)
	v_mul_f32_e32 v7, v1, v103
	v_fmac_f32_e32 v77, v32, v5
	v_mul_f32_e32 v5, v3, v38
	v_fma_f32 v6, v12, v6, -v49
	v_mul_f32_e32 v12, v0, v103
	v_fmac_f32_e32 v121, v8, v3
	v_fma_f32 v0, v28, v0, -v7
	v_fma_f32 v2, v8, v2, -v5
	s_waitcnt vmcnt(10) lgkmcnt(7)
	v_mul_f32_e32 v7, v74, v105
	v_mul_f32_e32 v8, v73, v105
	v_fma_f32 v4, v32, v4, -v120
	v_mul_f32_e32 v32, v46, v51
	v_fmac_f32_e32 v12, v28, v1
	v_fma_f32 v7, v24, v73, -v7
	v_fmac_f32_e32 v8, v24, v74
	global_load_dwordx2 v[73:74], v[116:117], off offset:336
	v_mul_f32_e32 v1, v47, v51
	s_waitcnt lgkmcnt(6)
	v_mul_f32_e32 v3, v45, v107
	v_mul_f32_e32 v5, v44, v107
	v_fmac_f32_e32 v32, v10, v47
	s_waitcnt vmcnt(10) lgkmcnt(5)
	v_mul_f32_e32 v28, v58, v109
	v_fma_f32 v1, v10, v46, -v1
	v_fma_f32 v3, v26, v44, -v3
	v_fmac_f32_e32 v5, v26, v45
	v_mul_f32_e32 v10, v59, v43
	v_mul_f32_e32 v26, v60, v43
	;; [unrolled: 1-line block ×3, first 2 shown]
	v_fma_f32 v28, v30, v57, -v28
	s_waitcnt vmcnt(9)
	v_mul_f32_e32 v44, v63, v42
	v_fmac_f32_e32 v10, v34, v60
	v_fma_f32 v26, v34, v59, -v26
	v_fmac_f32_e32 v24, v30, v58
	s_waitcnt vmcnt(8) lgkmcnt(4)
	v_mul_f32_e32 v46, v67, v111
	v_mul_f32_e32 v30, v64, v42
	;; [unrolled: 1-line block ×6, first 2 shown]
	s_waitcnt vmcnt(7) lgkmcnt(3)
	v_mul_f32_e32 v47, v71, v113
	v_fmac_f32_e32 v44, v33, v64
	v_fma_f32 v33, v33, v63, -v30
	v_mul_f32_e32 v30, v72, v113
	v_mul_f32_e32 v43, v66, v76
	s_waitcnt vmcnt(5)
	v_mul_f32_e32 v49, v37, v104
	v_mul_f32_e32 v51, v36, v104
	;; [unrolled: 1-line block ×3, first 2 shown]
	v_sub_f32_e32 v76, v10, v119
	v_fma_f32 v59, v29, v61, -v59
	v_fmac_f32_e32 v60, v29, v62
	v_sub_f32_e32 v29, v32, v121
	v_fmac_f32_e32 v45, v31, v66
	v_fmac_f32_e32 v46, v15, v68
	v_fma_f32 v15, v15, v67, -v34
	v_sub_f32_e32 v66, v77, v12
	v_sub_f32_e32 v67, v8, v5
	s_waitcnt lgkmcnt(2)
	v_mul_f32_e32 v42, v100, v115
	v_mul_f32_e32 v57, v99, v102
	;; [unrolled: 1-line block ×3, first 2 shown]
	v_sub_f32_e32 v62, v26, v1
	v_sub_f32_e32 v103, v4, v0
	;; [unrolled: 1-line block ×3, first 2 shown]
	v_fma_f32 v65, v31, v65, -v43
	v_sub_f32_e32 v43, v77, v8
	v_fmac_f32_e32 v64, v25, v70
	v_fmac_f32_e32 v47, v19, v72
	v_fma_f32 v70, v19, v71, -v30
	v_sub_f32_e32 v19, v12, v77
	v_add_f32_e32 v71, v77, v8
	v_add_f32_e32 v77, v77, v24
	v_fma_f32 v49, v23, v36, -v49
	v_fmac_f32_e32 v51, v23, v37
	v_sub_f32_e32 v23, v26, v6
	v_add_f32_e32 v29, v76, v29
	v_sub_f32_e32 v76, v6, v26
	v_add_f32_e32 v66, v66, v67
	v_add_f32_e32 v67, v26, v1
	;; [unrolled: 1-line block ×3, first 2 shown]
	v_mul_f32_e32 v38, v101, v115
	v_mul_f32_e32 v58, v98, v102
	v_sub_f32_e32 v61, v6, v2
	v_sub_f32_e32 v34, v12, v5
	v_fma_f32 v57, v27, v98, -v57
	v_add_f32_e32 v98, v12, v5
	v_fmac_f32_e32 v42, v17, v101
	v_fma_f32 v63, v25, v69, -v63
	v_sub_f32_e32 v30, v5, v8
	s_waitcnt lgkmcnt(1)
	v_add_f32_e32 v72, v10, v118
	v_sub_f32_e32 v36, v1, v2
	v_add_f32_e32 v37, v6, v2
	v_add_f32_e32 v103, v103, v104
	v_sub_f32_e32 v104, v2, v1
	v_add_f32_e32 v12, v12, v77
	v_add_f32_e32 v6, v26, v6
	v_fmac_f32_e32 v58, v27, v99
	v_sub_f32_e32 v27, v4, v7
	v_fma_f32 v17, v17, v100, -v38
	v_sub_f32_e32 v38, v119, v10
	v_sub_f32_e32 v99, v121, v32
	v_add_f32_e32 v100, v10, v32
	v_sub_f32_e32 v101, v0, v4
	v_add_f32_e32 v69, v4, v7
	v_add_f32_e32 v4, v4, v28
	;; [unrolled: 1-line block ×5, first 2 shown]
	v_fma_f32 v36, -0.5, v37, v20
	v_add_f32_e32 v37, v76, v104
	v_sub_f32_e32 v72, v65, v57
	v_sub_f32_e32 v76, v49, v63
	v_add_f32_e32 v5, v5, v12
	v_sub_f32_e32 v12, v46, v44
	v_add_f32_e32 v2, v6, v2
	;; [unrolled: 2-line block ×3, first 2 shown]
	v_add_f32_e32 v31, v0, v3
	v_sub_f32_e32 v68, v0, v3
	v_sub_f32_e32 v25, v3, v7
	v_fma_f32 v98, -0.5, v98, v24
	v_add_f32_e32 v38, v38, v99
	v_fma_f32 v99, -0.5, v100, v118
	v_fma_f32 v24, -0.5, v71, v24
	;; [unrolled: 1-line block ×3, first 2 shown]
	v_add_f32_e32 v0, v0, v4
	v_sub_f32_e32 v4, v44, v46
	v_sub_f32_e32 v20, v47, v42
	;; [unrolled: 1-line block ×5, first 2 shown]
	v_add_f32_e32 v72, v72, v76
	v_sub_f32_e32 v76, v58, v45
	v_add_f32_e32 v6, v12, v6
	v_add_f32_e32 v12, v45, v51
	;; [unrolled: 1-line block ×3, first 2 shown]
	v_fma_f32 v102, -0.5, v102, v118
	v_fma_f32 v31, -0.5, v31, v28
	v_add_f32_e32 v25, v101, v25
	v_sub_f32_e32 v101, v58, v64
	v_add_f32_e32 v108, v58, v64
	v_add_f32_e32 v0, v3, v0
	v_sub_f32_e32 v3, v57, v65
	v_add_f32_e32 v4, v4, v20
	v_sub_f32_e32 v20, v63, v49
	;; [unrolled: 2-line block ×3, first 2 shown]
	v_add_f32_e32 v45, v58, v45
	v_fmamk_f32 v58, v68, 0xbf737871, v24
	v_fmac_f32_e32 v24, 0x3f737871, v68
	v_sub_f32_e32 v105, v119, v121
	v_fma_f32 v28, -0.5, v69, v28
	v_add_f32_e32 v3, v3, v20
	v_fmamk_f32 v109, v62, 0x3f737871, v102
	v_add_f32_e32 v20, v76, v106
	v_fmamk_f32 v76, v27, 0x3f737871, v98
	v_fma_f32 v106, -0.5, v108, v60
	v_fma_f32 v12, -0.5, v12, v60
	v_fmamk_f32 v60, v61, 0xbf737871, v99
	v_fmac_f32_e32 v99, 0x3f737871, v61
	v_fmac_f32_e32 v102, 0xbf737871, v62
	;; [unrolled: 1-line block ×5, first 2 shown]
	v_fmamk_f32 v27, v43, 0xbf737871, v31
	v_fmac_f32_e32 v31, 0x3f737871, v43
	v_sub_f32_e32 v10, v10, v32
	v_fmac_f32_e32 v60, 0x3f167918, v62
	v_fmac_f32_e32 v99, 0xbf167918, v62
	v_fmamk_f32 v62, v34, 0x3f737871, v28
	v_fmac_f32_e32 v28, 0xbf737871, v34
	v_fmac_f32_e32 v109, 0x3f167918, v61
	;; [unrolled: 1-line block ×3, first 2 shown]
	v_add_f32_e32 v61, v44, v47
	v_fmac_f32_e32 v31, 0x3f167918, v34
	v_add_f32_e32 v5, v8, v5
	v_fmamk_f32 v8, v105, 0x3f737871, v67
	v_fmac_f32_e32 v67, 0xbf737871, v105
	v_add_f32_e32 v26, v46, v42
	v_sub_f32_e32 v69, v15, v17
	v_sub_f32_e32 v107, v57, v63
	v_fmac_f32_e32 v28, 0x3f167918, v43
	v_fmac_f32_e32 v98, 0xbf167918, v68
	s_waitcnt lgkmcnt(0)
	v_fma_f32 v61, -0.5, v61, v48
	v_fmac_f32_e32 v8, 0xbf167918, v10
	v_fmac_f32_e32 v67, 0x3f167918, v10
	;; [unrolled: 1-line block ×4, first 2 shown]
	v_add_f32_e32 v30, v121, v30
	v_fmac_f32_e32 v76, 0x3f167918, v68
	v_add_f32_e32 v68, v65, v49
	v_fma_f32 v108, -0.5, v26, v48
	v_add_f32_e32 v26, v44, v48
	v_sub_f32_e32 v71, v33, v70
	v_add_f32_e32 v77, v57, v63
	v_fmac_f32_e32 v62, 0xbf167918, v43
	v_sub_f32_e32 v43, v65, v49
	v_fmamk_f32 v113, v69, 0xbf737871, v61
	v_fmamk_f32 v115, v107, 0xbf737871, v12
	v_fmac_f32_e32 v61, 0x3f737871, v69
	v_fmac_f32_e32 v12, 0x3f737871, v107
	;; [unrolled: 1-line block ×8, first 2 shown]
	v_mul_f32_e32 v29, 0xbf167918, v31
	v_mul_f32_e32 v37, 0x3f737871, v24
	v_add_f32_e32 v30, v32, v30
	v_fma_f32 v68, -0.5, v68, v59
	v_add_f32_e32 v26, v46, v26
	v_fmac_f32_e32 v58, 0x3e9e377a, v19
	v_fmac_f32_e32 v27, 0xbf167918, v34
	v_fmamk_f32 v34, v10, 0xbf737871, v36
	v_fmac_f32_e32 v36, 0x3f737871, v10
	v_fma_f32 v77, -0.5, v77, v59
	v_add_f32_e32 v32, v64, v45
	v_fmac_f32_e32 v113, 0x3f167918, v71
	v_fmac_f32_e32 v115, 0x3f167918, v43
	;; [unrolled: 1-line block ×6, first 2 shown]
	v_add_f32_e32 v2, v1, v2
	v_fmamk_f32 v111, v43, 0x3f737871, v106
	v_fmamk_f32 v64, v101, 0x3f737871, v68
	v_fmac_f32_e32 v60, 0x3e9e377a, v38
	v_fmac_f32_e32 v99, 0x3e9e377a, v38
	v_fmac_f32_e32 v68, 0xbf737871, v101
	v_add_f32_e32 v38, v42, v26
	v_fmac_f32_e32 v62, 0x3e9e377a, v25
	v_sub_f32_e32 v1, v30, v5
	v_add_f32_e32 v26, v30, v5
	v_mul_f32_e32 v5, 0x3e9e377a, v58
	v_fmac_f32_e32 v34, 0xbf167918, v105
	v_fmac_f32_e32 v36, 0x3f167918, v105
	v_fmamk_f32 v105, v100, 0xbf737871, v77
	v_fmac_f32_e32 v77, 0x3f737871, v100
	v_add_f32_e32 v51, v51, v32
	v_fmac_f32_e32 v113, 0x3e9e377a, v6
	v_fmac_f32_e32 v115, 0x3e9e377a, v20
	;; [unrolled: 1-line block ×4, first 2 shown]
	v_sub_f32_e32 v20, v102, v29
	v_sub_f32_e32 v6, v67, v37
	v_add_f32_e32 v32, v102, v29
	v_add_f32_e32 v29, v67, v37
	;; [unrolled: 1-line block ×5, first 2 shown]
	v_fmac_f32_e32 v76, 0x3e9e377a, v66
	v_fmac_f32_e32 v111, 0x3f167918, v107
	;; [unrolled: 1-line block ×3, first 2 shown]
	v_fma_f32 v30, 0xbf737871, v62, -v5
	v_fmac_f32_e32 v105, 0xbf167918, v101
	v_fmac_f32_e32 v64, 0xbf167918, v100
	v_fmac_f32_e32 v77, 0x3f167918, v101
	v_mul_f32_e32 v19, 0x3e9e377a, v62
	v_sub_f32_e32 v42, v46, v42
	v_fma_f32 v67, -0.5, v37, v35
	v_fmamk_f32 v10, v71, 0x3f737871, v108
	v_fmac_f32_e32 v108, 0xbf737871, v71
	v_fmac_f32_e32 v27, 0x3e9e377a, v103
	;; [unrolled: 1-line block ×4, first 2 shown]
	v_sub_f32_e32 v0, v2, v7
	v_add_f32_e32 v25, v2, v7
	v_add_f32_e32 v66, v47, v38
	v_mul_f32_e32 v2, 0x3f4f1bbd, v76
	v_mul_f32_e32 v23, 0xbf737871, v28
	;; [unrolled: 1-line block ×3, first 2 shown]
	v_fmac_f32_e32 v111, 0x3e9e377a, v104
	v_fmac_f32_e32 v68, 0x3e9e377a, v3
	v_sub_f32_e32 v5, v60, v30
	v_add_f32_e32 v28, v60, v30
	v_fma_f32 v60, -0.5, v48, v35
	v_sub_f32_e32 v44, v44, v47
	v_sub_f32_e32 v47, v33, v15
	;; [unrolled: 1-line block ×3, first 2 shown]
	v_add_f32_e32 v33, v35, v33
	v_add_f32_e32 v35, v65, v59
	v_fmac_f32_e32 v105, 0x3e9e377a, v72
	v_fmac_f32_e32 v64, 0x3e9e377a, v3
	;; [unrolled: 1-line block ×3, first 2 shown]
	v_fma_f32 v45, 0x3f737871, v58, -v19
	v_mul_f32_e32 v58, 0x3e9e377a, v115
	v_sub_f32_e32 v71, v17, v70
	v_fmamk_f32 v72, v42, 0x3f737871, v67
	ds_read_b32 v59, v80
	v_fmac_f32_e32 v10, 0x3f167918, v69
	v_fmac_f32_e32 v108, 0xbf167918, v69
	v_mul_f32_e32 v7, 0x3f4f1bbd, v27
	v_fma_f32 v27, 0xbf167918, v27, -v2
	v_fmac_f32_e32 v38, 0x3f4f1bbd, v31
	v_mul_f32_e32 v31, 0x3f4f1bbd, v111
	v_mul_f32_e32 v62, 0xbf737871, v68
	v_sub_f32_e32 v37, v70, v17
	v_add_f32_e32 v15, v33, v15
	v_add_f32_e32 v33, v57, v35
	v_fmac_f32_e32 v106, 0xbf737871, v43
	v_fma_f32 v58, 0xbf737871, v64, -v58
	v_add_f32_e32 v48, v48, v71
	v_fmac_f32_e32 v72, 0xbf167918, v44
	v_fmac_f32_e32 v67, 0xbf737871, v42
	v_mul_f32_e32 v64, 0x3e9e377a, v64
	v_fmac_f32_e32 v10, 0x3e9e377a, v4
	v_fmac_f32_e32 v108, 0x3e9e377a, v4
	;; [unrolled: 1-line block ×3, first 2 shown]
	v_fma_f32 v43, 0x3f167918, v76, -v7
	v_sub_f32_e32 v3, v109, v27
	v_sub_f32_e32 v4, v8, v45
	v_add_f32_e32 v24, v109, v27
	v_add_f32_e32 v27, v8, v45
	v_fma_f32 v8, 0xbf167918, v105, -v31
	v_fmac_f32_e32 v62, 0x3e9e377a, v12
	v_add_f32_e32 v37, v47, v37
	v_mul_f32_e32 v47, 0x3f4f1bbd, v105
	v_add_f32_e32 v15, v15, v17
	v_add_f32_e32 v17, v63, v33
	v_fmac_f32_e32 v106, 0xbf167918, v107
	v_fmamk_f32 v46, v44, 0xbf737871, v60
	v_fmac_f32_e32 v72, 0x3e9e377a, v48
	v_fmac_f32_e32 v67, 0x3f167918, v44
	v_fma_f32 v64, 0x3f737871, v115, -v64
	v_sub_f32_e32 v7, v99, v23
	v_sub_f32_e32 v2, v34, v43
	;; [unrolled: 1-line block ×3, first 2 shown]
	v_add_f32_e32 v30, v99, v23
	v_add_f32_e32 v23, v34, v43
	;; [unrolled: 1-line block ×3, first 2 shown]
	v_sub_f32_e32 v34, v10, v8
	v_sub_f32_e32 v36, v113, v58
	;; [unrolled: 1-line block ×3, first 2 shown]
	v_fma_f32 v71, 0x3f167918, v111, -v47
	v_add_f32_e32 v63, v70, v15
	v_add_f32_e32 v65, v49, v17
	;; [unrolled: 1-line block ×5, first 2 shown]
	ds_read_b32 v8, v78
	ds_read_b32 v58, v81
	;; [unrolled: 1-line block ×3, first 2 shown]
	v_fmac_f32_e32 v106, 0x3e9e377a, v104
	v_mul_f32_e32 v69, 0xbf167918, v77
	v_sub_f32_e32 v45, v66, v51
	v_fmac_f32_e32 v46, 0xbf167918, v42
	v_fmac_f32_e32 v67, 0x3e9e377a, v48
	v_mul_f32_e32 v12, 0x3f737871, v12
	v_sub_f32_e32 v35, v72, v64
	v_add_f32_e32 v10, v66, v51
	s_waitcnt vmcnt(1)
	v_mul_f32_e32 v66, v96, v110
	v_add_f32_e32 v48, v72, v64
	v_mul_f32_e32 v64, v92, v114
	v_fmac_f32_e32 v69, 0x3f4f1bbd, v106
	v_fmac_f32_e32 v46, 0x3e9e377a, v37
	;; [unrolled: 1-line block ×4, first 2 shown]
	s_waitcnt lgkmcnt(3)
	v_mul_f32_e32 v62, v84, v59
	v_fmac_f32_e32 v66, v14, v97
	v_mul_f32_e32 v68, v88, v112
	v_mul_f32_e32 v51, v85, v59
	v_fmac_f32_e32 v64, v16, v93
	v_sub_f32_e32 v43, v108, v69
	v_fmac_f32_e32 v60, 0x3f167918, v42
	v_mul_f32_e32 v57, 0x3f167918, v106
	v_sub_f32_e32 v33, v46, v71
	v_add_f32_e32 v17, v108, v69
	v_add_f32_e32 v46, v46, v71
	v_fmac_f32_e32 v62, v56, v85
	v_mul_f32_e32 v59, v89, v112
	v_mul_f32_e32 v69, v97, v110
	;; [unrolled: 1-line block ×3, first 2 shown]
	v_fma_f32 v71, v56, v84, -v51
	v_add_f32_e32 v51, v66, v64
	v_fmac_f32_e32 v68, v18, v89
	v_fmac_f32_e32 v60, 0x3e9e377a, v37
	;; [unrolled: 1-line block ×3, first 2 shown]
	v_fma_f32 v59, v18, v88, -v59
	v_fma_f32 v18, v14, v96, -v69
	;; [unrolled: 1-line block ×3, first 2 shown]
	s_waitcnt lgkmcnt(2)
	v_fma_f32 v70, -0.5, v51, v8
	v_sub_f32_e32 v51, v62, v66
	v_sub_f32_e32 v72, v68, v64
	;; [unrolled: 1-line block ×3, first 2 shown]
	v_add_f32_e32 v16, v60, v57
	v_mul_f32_e32 v60, v91, v50
	v_mul_f32_e32 v50, v90, v50
	v_add_f32_e32 v57, v51, v72
	s_waitcnt lgkmcnt(1)
	v_mul_f32_e32 v51, v95, v58
	v_mul_f32_e32 v72, v87, v39
	;; [unrolled: 1-line block ×4, first 2 shown]
	s_waitcnt lgkmcnt(0)
	v_mul_f32_e32 v76, v83, v61
	v_fma_f32 v77, v55, v94, -v51
	s_waitcnt vmcnt(0)
	v_mul_f32_e32 v51, v74, v52
	v_mul_f32_e32 v52, v73, v52
	v_fma_f32 v60, v13, v90, -v60
	v_fma_f32 v72, v9, v86, -v72
	v_fmac_f32_e32 v58, v55, v95
	v_fmac_f32_e32 v50, v13, v91
	;; [unrolled: 1-line block ×3, first 2 shown]
	v_mul_f32_e32 v55, v82, v61
	v_fmac_f32_e32 v39, v9, v87
	v_fma_f32 v11, v11, v73, -v51
	v_fma_f32 v76, v54, v82, -v76
	v_add_f32_e32 v78, v60, v72
	v_fmac_f32_e32 v55, v54, v83
	v_add_f32_e32 v9, v50, v39
	v_sub_f32_e32 v51, v77, v60
	v_sub_f32_e32 v54, v11, v72
	;; [unrolled: 1-line block ×3, first 2 shown]
	v_fma_f32 v61, -0.5, v78, v76
	v_sub_f32_e32 v74, v77, v11
	v_fma_f32 v78, -0.5, v9, v55
	v_sub_f32_e32 v9, v58, v50
	v_sub_f32_e32 v80, v52, v39
	v_add_f32_e32 v83, v51, v54
	v_add_f32_e32 v51, v62, v68
	;; [unrolled: 1-line block ×3, first 2 shown]
	v_sub_f32_e32 v37, v67, v12
	v_sub_f32_e32 v44, v63, v65
	v_add_f32_e32 v14, v67, v12
	v_sub_f32_e32 v12, v18, v69
	v_fmamk_f32 v67, v56, 0x3f737871, v70
	v_sub_f32_e32 v13, v58, v52
	v_sub_f32_e32 v81, v60, v72
	v_fmamk_f32 v82, v74, 0x3f737871, v78
	v_add_f32_e32 v80, v9, v80
	v_add_f32_e32 v9, v63, v65
	v_fma_f32 v63, -0.5, v51, v8
	v_add_f32_e32 v86, v77, v11
	v_fma_f32 v84, -0.5, v84, v55
	v_fmac_f32_e32 v70, 0xbf737871, v56
	v_add_f32_e32 v8, v62, v8
	v_add_f32_e32 v55, v58, v55
	v_fmac_f32_e32 v67, 0x3f167918, v12
	v_fmamk_f32 v73, v13, 0xbf737871, v61
	v_sub_f32_e32 v79, v50, v39
	v_fmac_f32_e32 v82, 0x3f167918, v81
	v_sub_f32_e32 v51, v66, v62
	v_sub_f32_e32 v54, v64, v68
	v_fmamk_f32 v65, v12, 0xbf737871, v63
	v_fma_f32 v86, -0.5, v86, v76
	v_fmac_f32_e32 v63, 0x3f737871, v12
	v_fmac_f32_e32 v70, 0xbf167918, v12
	v_add_f32_e32 v8, v66, v8
	v_add_f32_e32 v12, v50, v55
	v_fmac_f32_e32 v73, 0xbf167918, v79
	v_fmac_f32_e32 v82, 0x3e9e377a, v80
	v_add_f32_e32 v51, v51, v54
	v_sub_f32_e32 v54, v60, v77
	v_sub_f32_e32 v90, v72, v11
	v_fmamk_f32 v91, v79, 0x3f737871, v86
	v_fmac_f32_e32 v86, 0xbf737871, v79
	v_fmac_f32_e32 v61, 0x3f737871, v13
	;; [unrolled: 1-line block ×3, first 2 shown]
	v_add_f32_e32 v8, v64, v8
	v_add_f32_e32 v12, v39, v12
	;; [unrolled: 1-line block ×3, first 2 shown]
	v_fmac_f32_e32 v67, 0x3e9e377a, v57
	v_fmac_f32_e32 v73, 0x3e9e377a, v83
	v_mul_f32_e32 v85, 0x3f4f1bbd, v82
	v_sub_f32_e32 v87, v50, v58
	v_sub_f32_e32 v88, v39, v52
	v_fmamk_f32 v89, v81, 0xbf737871, v84
	v_add_f32_e32 v54, v54, v90
	v_fmac_f32_e32 v84, 0x3f737871, v81
	v_fmac_f32_e32 v86, 0x3f167918, v13
	;; [unrolled: 1-line block ×4, first 2 shown]
	v_add_f32_e32 v50, v18, v69
	v_fmac_f32_e32 v70, 0x3e9e377a, v57
	v_add_f32_e32 v79, v68, v8
	v_add_f32_e32 v52, v52, v12
	v_sub_f32_e32 v8, v71, v18
	v_sub_f32_e32 v12, v59, v69
	v_sub_f32_e32 v57, v66, v64
	v_fma_f32 v81, -0.5, v55, v53
	v_mul_hi_u32 v64, 0x1b4e81b5, v75
	v_add_f32_e32 v87, v87, v88
	v_fmac_f32_e32 v89, 0x3f167918, v74
	v_fmac_f32_e32 v84, 0xbf167918, v74
	;; [unrolled: 1-line block ×3, first 2 shown]
	v_fma_f32 v85, 0xbf167918, v73, -v85
	v_fma_f32 v39, -0.5, v50, v53
	v_sub_f32_e32 v50, v62, v68
	v_add_f32_e32 v8, v8, v12
	v_mul_f32_e32 v12, 0x3f4f1bbd, v73
	v_fmamk_f32 v73, v57, 0x3f737871, v81
	v_fmac_f32_e32 v81, 0xbf737871, v57
	v_sub_f32_e32 v55, v18, v71
	v_sub_f32_e32 v62, v69, v59
	v_fmac_f32_e32 v89, 0x3e9e377a, v87
	v_fmac_f32_e32 v84, 0x3e9e377a, v87
	v_mul_f32_e32 v87, 0xbf737871, v86
	v_fmac_f32_e32 v61, 0x3e9e377a, v83
	v_fmac_f32_e32 v78, 0x3e9e377a, v80
	v_fmamk_f32 v80, v50, 0xbf737871, v39
	v_fmac_f32_e32 v73, 0xbf167918, v50
	v_fmac_f32_e32 v81, 0x3f167918, v50
	v_add_f32_e32 v53, v53, v71
	v_fmac_f32_e32 v39, 0x3f737871, v50
	v_lshrrev_b32_e32 v50, 5, v64
	v_add_f32_e32 v55, v55, v62
	v_fmac_f32_e32 v87, 0x3e9e377a, v84
	v_mul_f32_e32 v74, 0xbf167918, v61
	v_mul_f32_e32 v84, 0x3f737871, v84
	v_add_f32_e32 v18, v53, v18
	v_mul_u32_u24_e32 v50, 0x12c, v50
	v_fmac_f32_e32 v91, 0xbf167918, v13
	v_fmac_f32_e32 v73, 0x3e9e377a, v55
	;; [unrolled: 1-line block ×3, first 2 shown]
	v_add_f32_e32 v55, v77, v76
	v_fmac_f32_e32 v74, 0x3f4f1bbd, v78
	v_fmac_f32_e32 v84, 0x3e9e377a, v86
	v_add_f32_e32 v18, v18, v69
	v_sub_nc_u32_e32 v86, v75, v50
	v_fmac_f32_e32 v91, 0x3e9e377a, v54
	v_fmac_f32_e32 v39, 0x3f167918, v57
	v_mul_f32_e32 v76, 0x3f167918, v78
	v_add_f32_e32 v53, v60, v55
	v_fmac_f32_e32 v65, 0x3f167918, v56
	v_fmac_f32_e32 v63, 0xbf167918, v56
	v_sub_f32_e32 v56, v70, v74
	v_sub_f32_e32 v58, v79, v52
	v_add_f32_e32 v18, v59, v18
	v_mad_u64_u32 v[59:60], null, s2, v86, 0
	v_add_f32_e32 v68, v70, v74
	v_add_f32_e32 v70, v79, v52
	v_add_nc_u32_e32 v52, 0x12c, v86
	v_fmac_f32_e32 v80, 0xbf167918, v57
	v_mul_f32_e32 v62, 0x3e9e377a, v91
	v_fmac_f32_e32 v39, 0x3e9e377a, v8
	v_fmac_f32_e32 v76, 0x3f4f1bbd, v61
	v_add_f32_e32 v53, v72, v53
	v_mad_u64_u32 v[71:72], null, s2, v52, 0
	v_mul_f32_e32 v54, 0x3e9e377a, v89
	v_fmac_f32_e32 v63, 0x3e9e377a, v51
	v_sub_f32_e32 v13, v67, v85
	v_fmac_f32_e32 v80, 0x3e9e377a, v8
	v_fma_f32 v83, 0x3f737871, v89, -v62
	v_sub_f32_e32 v55, v39, v76
	v_add_f32_e32 v62, v67, v85
	v_mov_b32_e32 v8, v60
	v_add_f32_e32 v67, v39, v76
	v_add_nc_u32_e32 v76, 0x258, v86
	v_add_f32_e32 v11, v11, v53
	v_fma_f32 v88, 0xbf737871, v91, -v54
	v_sub_f32_e32 v54, v63, v87
	v_sub_f32_e32 v50, v73, v83
	v_add_f32_e32 v66, v63, v87
	v_mad_u64_u32 v[60:61], null, s3, v86, v[8:9]
	v_add_f32_e32 v63, v73, v83
	v_lshlrev_b64 v[39:40], 3, v[40:41]
	v_mov_b32_e32 v8, v72
	v_mad_u64_u32 v[73:74], null, s2, v76, 0
	v_sub_f32_e32 v57, v18, v11
	v_add_f32_e32 v69, v18, v11
	v_add_co_u32 v11, vcc_lo, s10, v21
	v_add_co_ci_u32_e32 v18, vcc_lo, s11, v22, vcc_lo
	v_mad_u64_u32 v[21:22], null, s3, v52, v[8:9]
	v_add_co_u32 v8, vcc_lo, v11, v39
	v_add_co_ci_u32_e32 v11, vcc_lo, v18, v40, vcc_lo
	v_mov_b32_e32 v18, v74
	v_add_nc_u32_e32 v41, 0x384, v86
	v_mov_b32_e32 v72, v21
	v_lshlrev_b64 v[39:40], 3, v[59:60]
	v_add_nc_u32_e32 v52, 0x4b0, v86
	v_mad_u64_u32 v[21:22], null, s3, v76, v[18:19]
	v_mad_u64_u32 v[59:60], null, s2, v41, 0
	v_lshlrev_b64 v[71:72], 3, v[71:72]
	v_add_co_u32 v39, vcc_lo, v8, v39
	v_add_co_ci_u32_e32 v40, vcc_lo, v11, v40, vcc_lo
	v_mov_b32_e32 v74, v21
	v_mad_u64_u32 v[21:22], null, s2, v52, 0
	v_mov_b32_e32 v18, v60
	v_fmac_f32_e32 v65, 0x3e9e377a, v51
	v_lshlrev_b64 v[73:74], 3, v[73:74]
	v_add_co_u32 v71, vcc_lo, v8, v71
	v_mad_u64_u32 v[76:77], null, s3, v41, v[18:19]
	v_mov_b32_e32 v18, v22
	v_add_nc_u32_e32 v41, 0x5dc, v86
	v_add_co_ci_u32_e32 v72, vcc_lo, v11, v72, vcc_lo
	v_add_co_u32 v73, vcc_lo, v8, v73
	v_mad_u64_u32 v[77:78], null, s3, v52, v[18:19]
	v_mad_u64_u32 v[78:79], null, s2, v41, 0
	v_mov_b32_e32 v60, v76
	v_add_nc_u32_e32 v52, 0x708, v86
	v_sub_f32_e32 v51, v65, v88
	v_add_f32_e32 v64, v65, v88
	v_add_f32_e32 v65, v81, v84
	v_add_co_ci_u32_e32 v74, vcc_lo, v11, v74, vcc_lo
	global_store_dwordx2 v[39:40], v[69:70], off
	global_store_dwordx2 v[71:72], v[67:68], off
	global_store_dwordx2 v[73:74], v[65:66], off
	v_lshlrev_b64 v[39:40], 3, v[59:60]
	v_mad_u64_u32 v[59:60], null, s2, v52, 0
	v_mov_b32_e32 v22, v77
	v_mov_b32_e32 v18, v79
	v_fma_f32 v82, 0x3f167918, v82, -v12
	v_add_co_u32 v39, vcc_lo, v8, v39
	v_lshlrev_b64 v[21:22], 3, v[21:22]
	v_mad_u64_u32 v[65:66], null, s3, v41, v[18:19]
	v_mov_b32_e32 v18, v60
	v_add_nc_u32_e32 v70, 0x834, v86
	v_add_co_ci_u32_e32 v40, vcc_lo, v11, v40, vcc_lo
	v_add_co_u32 v21, vcc_lo, v8, v21
	v_mad_u64_u32 v[68:69], null, s3, v52, v[18:19]
	v_add_nc_u32_e32 v52, 0x64, v75
	v_add_f32_e32 v61, v80, v82
	v_add_co_ci_u32_e32 v22, vcc_lo, v11, v22, vcc_lo
	v_mad_u64_u32 v[66:67], null, s2, v70, 0
	global_store_dwordx2 v[39:40], v[63:64], off
	global_store_dwordx2 v[21:22], v[61:62], off
	v_mul_hi_u32 v61, 0x1b4e81b5, v52
	v_mov_b32_e32 v60, v68
	v_mov_b32_e32 v79, v65
	v_add_nc_u32_e32 v65, 0x960, v86
	v_add_nc_u32_e32 v69, 0xa8c, v86
	v_mov_b32_e32 v18, v67
	v_lshlrev_b64 v[59:60], 3, v[59:60]
	v_lshlrev_b64 v[21:22], 3, v[78:79]
	v_lshrrev_b32_e32 v68, 5, v61
	v_mad_u64_u32 v[61:62], null, s2, v69, 0
	v_mad_u64_u32 v[39:40], null, s3, v70, v[18:19]
	v_mul_u32_u24_e32 v63, 0x12c, v68
	v_mad_u64_u32 v[40:41], null, s2, v65, 0
	v_add_co_u32 v21, vcc_lo, v8, v21
	v_add_co_ci_u32_e32 v22, vcc_lo, v11, v22, vcc_lo
	v_mov_b32_e32 v67, v39
	v_sub_nc_u32_e32 v39, v52, v63
	v_mov_b32_e32 v18, v41
	v_add_co_u32 v59, vcc_lo, v8, v59
	v_lshlrev_b64 v[63:64], 3, v[66:67]
	v_mad_u32_u24 v70, 0xbb8, v68, v39
	v_mad_u64_u32 v[65:66], null, s3, v65, v[18:19]
	v_add_co_ci_u32_e32 v60, vcc_lo, v11, v60, vcc_lo
	v_mad_u64_u32 v[66:67], null, s2, v70, 0
	v_mov_b32_e32 v18, v62
	v_add_co_u32 v62, vcc_lo, v8, v63
	v_sub_f32_e32 v53, v81, v84
	v_add_co_ci_u32_e32 v63, vcc_lo, v11, v64, vcc_lo
	v_mad_u64_u32 v[68:69], null, s3, v69, v[18:19]
	v_mov_b32_e32 v41, v65
	v_mov_b32_e32 v18, v67
	global_store_dwordx2 v[21:22], v[57:58], off
	global_store_dwordx2 v[59:60], v[55:56], off
	;; [unrolled: 1-line block ×3, first 2 shown]
	v_add_nc_u32_e32 v58, 0x12c, v70
	v_add_nc_u32_e32 v60, 0x258, v70
	v_lshlrev_b64 v[21:22], 3, v[40:41]
	v_mad_u64_u32 v[39:40], null, s3, v70, v[18:19]
	v_mad_u64_u32 v[40:41], null, s2, v58, 0
	v_mov_b32_e32 v62, v68
	v_mad_u64_u32 v[54:55], null, s2, v60, 0
	v_add_co_u32 v21, vcc_lo, v8, v21
	v_mov_b32_e32 v67, v39
	v_mov_b32_e32 v18, v41
	v_lshlrev_b64 v[52:53], 3, v[61:62]
	v_add_co_ci_u32_e32 v22, vcc_lo, v11, v22, vcc_lo
	v_lshlrev_b64 v[56:57], 3, v[66:67]
	v_mad_u64_u32 v[58:59], null, s3, v58, v[18:19]
	v_add_co_u32 v52, vcc_lo, v8, v52
	v_mov_b32_e32 v18, v55
	v_add_nc_u32_e32 v61, 0x384, v70
	v_add_co_ci_u32_e32 v53, vcc_lo, v11, v53, vcc_lo
	v_add_co_u32 v55, vcc_lo, v8, v56
	v_mov_b32_e32 v41, v58
	v_sub_f32_e32 v12, v80, v82
	v_add_co_ci_u32_e32 v56, vcc_lo, v11, v57, vcc_lo
	v_mad_u64_u32 v[57:58], null, s3, v60, v[18:19]
	v_mad_u64_u32 v[58:59], null, s2, v61, 0
	global_store_dwordx2 v[21:22], v[50:51], off
	global_store_dwordx2 v[52:53], v[12:13], off
	;; [unrolled: 1-line block ×3, first 2 shown]
	v_lshlrev_b64 v[9:10], 3, v[40:41]
	v_add_nc_u32_e32 v41, 0x4b0, v70
	v_add_nc_u32_e32 v52, 0x5dc, v70
	v_mov_b32_e32 v55, v57
	v_mov_b32_e32 v12, v59
	v_mad_u64_u32 v[21:22], null, s2, v41, 0
	v_mad_u64_u32 v[39:40], null, s2, v52, 0
	;; [unrolled: 1-line block ×3, first 2 shown]
	v_lshlrev_b64 v[50:51], 3, v[54:55]
	v_add_co_u32 v9, vcc_lo, v8, v9
	v_mov_b32_e32 v13, v22
	v_mov_b32_e32 v18, v40
	v_add_co_ci_u32_e32 v10, vcc_lo, v11, v10, vcc_lo
	v_mov_b32_e32 v59, v12
	v_mad_u64_u32 v[12:13], null, s3, v41, v[13:14]
	v_mad_u64_u32 v[40:41], null, s3, v52, v[18:19]
	v_add_nc_u32_e32 v41, 0x708, v70
	v_add_co_u32 v50, vcc_lo, v8, v50
	v_add_co_ci_u32_e32 v51, vcc_lo, v11, v51, vcc_lo
	global_store_dwordx2 v[9:10], v[16:17], off
	v_mad_u64_u32 v[16:17], null, s2, v41, 0
	v_mov_b32_e32 v22, v12
	v_lshlrev_b64 v[9:10], 3, v[58:59]
	global_store_dwordx2 v[50:51], v[14:15], off
	v_add_nc_u32_e32 v50, 0x834, v70
	v_add_nc_u32_e32 v52, 0xc8, v75
	v_lshlrev_b64 v[13:14], 3, v[21:22]
	v_mov_b32_e32 v12, v17
	v_add_co_u32 v9, vcc_lo, v8, v9
	v_lshlrev_b64 v[17:18], 3, v[39:40]
	v_mad_u64_u32 v[39:40], null, s2, v50, 0
	v_add_co_ci_u32_e32 v10, vcc_lo, v11, v10, vcc_lo
	v_mad_u64_u32 v[21:22], null, s3, v41, v[12:13]
	v_add_co_u32 v12, vcc_lo, v8, v13
	v_add_co_ci_u32_e32 v13, vcc_lo, v11, v14, vcc_lo
	v_add_co_u32 v14, vcc_lo, v8, v17
	v_add_co_ci_u32_e32 v15, vcc_lo, v11, v18, vcc_lo
	v_mov_b32_e32 v18, v40
	v_add_nc_u32_e32 v41, 0x960, v70
	v_mov_b32_e32 v17, v21
	global_store_dwordx2 v[9:10], v[48:49], off
	global_store_dwordx2 v[12:13], v[46:47], off
	;; [unrolled: 1-line block ×3, first 2 shown]
	v_mad_u64_u32 v[21:22], null, s3, v50, v[18:19]
	v_mad_u64_u32 v[50:51], null, s2, v41, 0
	v_add_nc_u32_e32 v22, 0xa8c, v70
	v_mul_hi_u32 v18, 0x1b4e81b5, v52
	v_lshlrev_b64 v[9:10], 3, v[16:17]
	v_mov_b32_e32 v40, v21
	v_mad_u64_u32 v[13:14], null, s2, v22, 0
	v_mov_b32_e32 v12, v51
	v_add_co_u32 v9, vcc_lo, v8, v9
	v_lshrrev_b32_e32 v18, 5, v18
	v_add_co_ci_u32_e32 v10, vcc_lo, v11, v10, vcc_lo
	v_mad_u64_u32 v[15:16], null, s3, v41, v[12:13]
	v_mul_u32_u24_e32 v16, 0x12c, v18
	v_mov_b32_e32 v12, v14
	global_store_dwordx2 v[9:10], v[42:43], off
	v_sub_nc_u32_e32 v21, v52, v16
	v_lshlrev_b64 v[16:17], 3, v[39:40]
	v_mov_b32_e32 v51, v15
	v_mad_u64_u32 v[14:15], null, s3, v22, v[12:13]
	v_mad_u32_u24 v41, 0xbb8, v18, v21
	v_add_co_u32 v15, vcc_lo, v8, v16
	v_add_co_ci_u32_e32 v16, vcc_lo, v11, v17, vcc_lo
	v_mad_u64_u32 v[17:18], null, s2, v41, 0
	v_add_nc_u32_e32 v39, 0x12c, v41
	v_lshlrev_b64 v[9:10], 3, v[50:51]
	v_lshlrev_b64 v[13:14], 3, v[13:14]
	global_store_dwordx2 v[15:16], v[37:38], off
	v_add_nc_u32_e32 v42, 0x258, v41
	v_mad_u64_u32 v[15:16], null, s2, v39, 0
	v_mov_b32_e32 v12, v18
	v_add_co_u32 v9, vcc_lo, v8, v9
	v_add_co_ci_u32_e32 v10, vcc_lo, v11, v10, vcc_lo
	v_mad_u64_u32 v[21:22], null, s3, v41, v[12:13]
	v_add_co_u32 v12, vcc_lo, v8, v13
	v_mad_u64_u32 v[37:38], null, s2, v42, 0
	v_add_co_ci_u32_e32 v13, vcc_lo, v11, v14, vcc_lo
	v_mov_b32_e32 v14, v16
	v_add_nc_u32_e32 v43, 0x384, v41
	v_mov_b32_e32 v18, v21
	global_store_dwordx2 v[9:10], v[35:36], off
	v_mov_b32_e32 v9, v38
	v_mad_u64_u32 v[39:40], null, s3, v39, v[14:15]
	v_mad_u64_u32 v[21:22], null, s2, v43, 0
	;; [unrolled: 1-line block ×3, first 2 shown]
	global_store_dwordx2 v[12:13], v[33:34], off
	v_lshlrev_b64 v[12:13], 3, v[17:18]
	v_mov_b32_e32 v16, v39
	v_add_nc_u32_e32 v33, 0x4b0, v41
	v_mov_b32_e32 v10, v22
	v_mov_b32_e32 v38, v9
	v_lshlrev_b64 v[14:15], 3, v[15:16]
	v_add_co_u32 v12, vcc_lo, v8, v12
	v_mad_u64_u32 v[16:17], null, s3, v43, v[10:11]
	v_mad_u64_u32 v[17:18], null, s2, v33, 0
	v_add_co_ci_u32_e32 v13, vcc_lo, v11, v13, vcc_lo
	v_add_co_u32 v9, vcc_lo, v8, v14
	v_add_co_ci_u32_e32 v10, vcc_lo, v11, v15, vcc_lo
	global_store_dwordx2 v[12:13], v[25:26], off
	v_lshlrev_b64 v[13:14], 3, v[37:38]
	v_mov_b32_e32 v22, v16
	v_mov_b32_e32 v12, v18
	global_store_dwordx2 v[9:10], v[31:32], off
	v_add_nc_u32_e32 v25, 0x708, v41
	v_lshlrev_b64 v[9:10], 3, v[21:22]
	v_mad_u64_u32 v[15:16], null, s3, v33, v[12:13]
	v_add_co_u32 v12, vcc_lo, v8, v13
	v_add_co_ci_u32_e32 v13, vcc_lo, v11, v14, vcc_lo
	v_add_co_u32 v9, vcc_lo, v8, v9
	v_add_co_ci_u32_e32 v10, vcc_lo, v11, v10, vcc_lo
	v_mov_b32_e32 v18, v15
	v_add_nc_u32_e32 v21, 0x5dc, v41
	global_store_dwordx2 v[12:13], v[29:30], off
	global_store_dwordx2 v[9:10], v[27:28], off
	v_mad_u64_u32 v[12:13], null, s2, v25, 0
	v_lshlrev_b64 v[9:10], 3, v[17:18]
	v_add_nc_u32_e32 v18, 0x834, v41
	v_mad_u64_u32 v[14:15], null, s2, v21, 0
	v_add_nc_u32_e32 v28, 0x960, v41
	v_add_nc_u32_e32 v29, 0xa8c, v41
	v_mad_u64_u32 v[16:17], null, s2, v18, 0
	v_add_co_u32 v9, vcc_lo, v8, v9
	v_mad_u64_u32 v[25:26], null, s3, v25, v[13:14]
	v_mad_u64_u32 v[26:27], null, s2, v28, 0
	;; [unrolled: 1-line block ×3, first 2 shown]
	v_add_co_ci_u32_e32 v10, vcc_lo, v11, v10, vcc_lo
	v_mov_b32_e32 v13, v17
	global_store_dwordx2 v[9:10], v[23:24], off
	v_mov_b32_e32 v15, v21
	v_mad_u64_u32 v[21:22], null, s2, v29, 0
	v_mov_b32_e32 v9, v27
	v_mad_u64_u32 v[17:18], null, s3, v18, v[13:14]
	v_mov_b32_e32 v13, v25
	v_lshlrev_b64 v[14:15], 3, v[14:15]
	v_mad_u64_u32 v[9:10], null, s3, v28, v[9:10]
	v_mov_b32_e32 v10, v22
	v_lshlrev_b64 v[12:13], 3, v[12:13]
	v_lshlrev_b64 v[16:17], 3, v[16:17]
	v_add_co_u32 v14, vcc_lo, v8, v14
	v_mad_u64_u32 v[22:23], null, s3, v29, v[10:11]
	v_mov_b32_e32 v27, v9
	v_add_co_ci_u32_e32 v15, vcc_lo, v11, v15, vcc_lo
	v_add_co_u32 v9, vcc_lo, v8, v12
	v_add_co_ci_u32_e32 v10, vcc_lo, v11, v13, vcc_lo
	v_lshlrev_b64 v[12:13], 3, v[26:27]
	v_add_co_u32 v16, vcc_lo, v8, v16
	v_lshlrev_b64 v[21:22], 3, v[21:22]
	v_add_co_ci_u32_e32 v17, vcc_lo, v11, v17, vcc_lo
	v_add_co_u32 v12, vcc_lo, v8, v12
	v_add_co_ci_u32_e32 v13, vcc_lo, v11, v13, vcc_lo
	v_add_co_u32 v21, vcc_lo, v8, v21
	v_add_co_ci_u32_e32 v22, vcc_lo, v11, v22, vcc_lo
	global_store_dwordx2 v[14:15], v[0:1], off
	global_store_dwordx2 v[9:10], v[19:20], off
	;; [unrolled: 1-line block ×5, first 2 shown]
.LBB0_15:
	s_endpgm
	.section	.rodata,"a",@progbits
	.p2align	6, 0x0
	.amdhsa_kernel fft_rtc_fwd_len3000_factors_10_3_10_10_wgs_100_tpt_100_halfLds_sp_op_CI_CI_sbrr_dirReg
		.amdhsa_group_segment_fixed_size 0
		.amdhsa_private_segment_fixed_size 0
		.amdhsa_kernarg_size 104
		.amdhsa_user_sgpr_count 6
		.amdhsa_user_sgpr_private_segment_buffer 1
		.amdhsa_user_sgpr_dispatch_ptr 0
		.amdhsa_user_sgpr_queue_ptr 0
		.amdhsa_user_sgpr_kernarg_segment_ptr 1
		.amdhsa_user_sgpr_dispatch_id 0
		.amdhsa_user_sgpr_flat_scratch_init 0
		.amdhsa_user_sgpr_private_segment_size 0
		.amdhsa_wavefront_size32 1
		.amdhsa_uses_dynamic_stack 0
		.amdhsa_system_sgpr_private_segment_wavefront_offset 0
		.amdhsa_system_sgpr_workgroup_id_x 1
		.amdhsa_system_sgpr_workgroup_id_y 0
		.amdhsa_system_sgpr_workgroup_id_z 0
		.amdhsa_system_sgpr_workgroup_info 0
		.amdhsa_system_vgpr_workitem_id 0
		.amdhsa_next_free_vgpr 148
		.amdhsa_next_free_sgpr 31
		.amdhsa_reserve_vcc 1
		.amdhsa_reserve_flat_scratch 0
		.amdhsa_float_round_mode_32 0
		.amdhsa_float_round_mode_16_64 0
		.amdhsa_float_denorm_mode_32 3
		.amdhsa_float_denorm_mode_16_64 3
		.amdhsa_dx10_clamp 1
		.amdhsa_ieee_mode 1
		.amdhsa_fp16_overflow 0
		.amdhsa_workgroup_processor_mode 1
		.amdhsa_memory_ordered 1
		.amdhsa_forward_progress 0
		.amdhsa_shared_vgpr_count 0
		.amdhsa_exception_fp_ieee_invalid_op 0
		.amdhsa_exception_fp_denorm_src 0
		.amdhsa_exception_fp_ieee_div_zero 0
		.amdhsa_exception_fp_ieee_overflow 0
		.amdhsa_exception_fp_ieee_underflow 0
		.amdhsa_exception_fp_ieee_inexact 0
		.amdhsa_exception_int_div_zero 0
	.end_amdhsa_kernel
	.text
.Lfunc_end0:
	.size	fft_rtc_fwd_len3000_factors_10_3_10_10_wgs_100_tpt_100_halfLds_sp_op_CI_CI_sbrr_dirReg, .Lfunc_end0-fft_rtc_fwd_len3000_factors_10_3_10_10_wgs_100_tpt_100_halfLds_sp_op_CI_CI_sbrr_dirReg
                                        ; -- End function
	.section	.AMDGPU.csdata,"",@progbits
; Kernel info:
; codeLenInByte = 19132
; NumSgprs: 33
; NumVgprs: 148
; ScratchSize: 0
; MemoryBound: 0
; FloatMode: 240
; IeeeMode: 1
; LDSByteSize: 0 bytes/workgroup (compile time only)
; SGPRBlocks: 4
; VGPRBlocks: 18
; NumSGPRsForWavesPerEU: 33
; NumVGPRsForWavesPerEU: 148
; Occupancy: 6
; WaveLimiterHint : 1
; COMPUTE_PGM_RSRC2:SCRATCH_EN: 0
; COMPUTE_PGM_RSRC2:USER_SGPR: 6
; COMPUTE_PGM_RSRC2:TRAP_HANDLER: 0
; COMPUTE_PGM_RSRC2:TGID_X_EN: 1
; COMPUTE_PGM_RSRC2:TGID_Y_EN: 0
; COMPUTE_PGM_RSRC2:TGID_Z_EN: 0
; COMPUTE_PGM_RSRC2:TIDIG_COMP_CNT: 0
	.text
	.p2alignl 6, 3214868480
	.fill 48, 4, 3214868480
	.type	__hip_cuid_7401862e4c20b7c4,@object ; @__hip_cuid_7401862e4c20b7c4
	.section	.bss,"aw",@nobits
	.globl	__hip_cuid_7401862e4c20b7c4
__hip_cuid_7401862e4c20b7c4:
	.byte	0                               ; 0x0
	.size	__hip_cuid_7401862e4c20b7c4, 1

	.ident	"AMD clang version 19.0.0git (https://github.com/RadeonOpenCompute/llvm-project roc-6.4.0 25133 c7fe45cf4b819c5991fe208aaa96edf142730f1d)"
	.section	".note.GNU-stack","",@progbits
	.addrsig
	.addrsig_sym __hip_cuid_7401862e4c20b7c4
	.amdgpu_metadata
---
amdhsa.kernels:
  - .args:
      - .actual_access:  read_only
        .address_space:  global
        .offset:         0
        .size:           8
        .value_kind:     global_buffer
      - .offset:         8
        .size:           8
        .value_kind:     by_value
      - .actual_access:  read_only
        .address_space:  global
        .offset:         16
        .size:           8
        .value_kind:     global_buffer
      - .actual_access:  read_only
        .address_space:  global
        .offset:         24
        .size:           8
        .value_kind:     global_buffer
      - .actual_access:  read_only
        .address_space:  global
        .offset:         32
        .size:           8
        .value_kind:     global_buffer
      - .offset:         40
        .size:           8
        .value_kind:     by_value
      - .actual_access:  read_only
        .address_space:  global
        .offset:         48
        .size:           8
        .value_kind:     global_buffer
      - .actual_access:  read_only
        .address_space:  global
        .offset:         56
        .size:           8
        .value_kind:     global_buffer
      - .offset:         64
        .size:           4
        .value_kind:     by_value
      - .actual_access:  read_only
        .address_space:  global
        .offset:         72
        .size:           8
        .value_kind:     global_buffer
      - .actual_access:  read_only
        .address_space:  global
        .offset:         80
        .size:           8
        .value_kind:     global_buffer
      - .actual_access:  read_only
        .address_space:  global
        .offset:         88
        .size:           8
        .value_kind:     global_buffer
      - .actual_access:  write_only
        .address_space:  global
        .offset:         96
        .size:           8
        .value_kind:     global_buffer
    .group_segment_fixed_size: 0
    .kernarg_segment_align: 8
    .kernarg_segment_size: 104
    .language:       OpenCL C
    .language_version:
      - 2
      - 0
    .max_flat_workgroup_size: 100
    .name:           fft_rtc_fwd_len3000_factors_10_3_10_10_wgs_100_tpt_100_halfLds_sp_op_CI_CI_sbrr_dirReg
    .private_segment_fixed_size: 0
    .sgpr_count:     33
    .sgpr_spill_count: 0
    .symbol:         fft_rtc_fwd_len3000_factors_10_3_10_10_wgs_100_tpt_100_halfLds_sp_op_CI_CI_sbrr_dirReg.kd
    .uniform_work_group_size: 1
    .uses_dynamic_stack: false
    .vgpr_count:     148
    .vgpr_spill_count: 0
    .wavefront_size: 32
    .workgroup_processor_mode: 1
amdhsa.target:   amdgcn-amd-amdhsa--gfx1030
amdhsa.version:
  - 1
  - 2
...

	.end_amdgpu_metadata
